;; amdgpu-corpus repo=ROCm/rocFFT kind=compiled arch=gfx1030 opt=O3
	.text
	.amdgcn_target "amdgcn-amd-amdhsa--gfx1030"
	.amdhsa_code_object_version 6
	.protected	fft_rtc_back_len325_factors_13_5_5_wgs_52_tpt_13_sp_op_CI_CI_sbrr_dirReg ; -- Begin function fft_rtc_back_len325_factors_13_5_5_wgs_52_tpt_13_sp_op_CI_CI_sbrr_dirReg
	.globl	fft_rtc_back_len325_factors_13_5_5_wgs_52_tpt_13_sp_op_CI_CI_sbrr_dirReg
	.p2align	8
	.type	fft_rtc_back_len325_factors_13_5_5_wgs_52_tpt_13_sp_op_CI_CI_sbrr_dirReg,@function
fft_rtc_back_len325_factors_13_5_5_wgs_52_tpt_13_sp_op_CI_CI_sbrr_dirReg: ; @fft_rtc_back_len325_factors_13_5_5_wgs_52_tpt_13_sp_op_CI_CI_sbrr_dirReg
; %bb.0:
	s_clause 0x2
	s_load_dwordx4 s[16:19], s[4:5], 0x18
	s_load_dwordx4 s[12:15], s[4:5], 0x0
	;; [unrolled: 1-line block ×3, first 2 shown]
	v_mul_u32_u24_e32 v1, 0x13b2, v0
	v_mov_b32_e32 v3, 0
	s_waitcnt lgkmcnt(0)
	s_load_dwordx2 s[20:21], s[16:17], 0x0
	s_load_dwordx2 s[2:3], s[18:19], 0x0
	v_lshrrev_b32_e32 v7, 16, v1
	v_cmp_lt_u64_e64 s0, s[14:15], 2
	v_mov_b32_e32 v1, 0
	v_mov_b32_e32 v6, v3
	;; [unrolled: 1-line block ×3, first 2 shown]
	v_lshl_add_u32 v5, s6, 2, v7
	s_and_b32 vcc_lo, exec_lo, s0
	s_cbranch_vccnz .LBB0_8
; %bb.1:
	s_load_dwordx2 s[0:1], s[4:5], 0x10
	v_mov_b32_e32 v1, 0
	v_mov_b32_e32 v2, 0
	s_add_u32 s6, s18, 8
	s_addc_u32 s7, s19, 0
	s_add_u32 s22, s16, 8
	s_addc_u32 s23, s17, 0
	v_mov_b32_e32 v49, v2
	v_mov_b32_e32 v48, v1
	s_mov_b64 s[26:27], 1
	s_waitcnt lgkmcnt(0)
	s_add_u32 s24, s0, 8
	s_addc_u32 s25, s1, 0
.LBB0_2:                                ; =>This Inner Loop Header: Depth=1
	s_load_dwordx2 s[28:29], s[24:25], 0x0
                                        ; implicit-def: $vgpr50_vgpr51
	s_mov_b32 s0, exec_lo
	s_waitcnt lgkmcnt(0)
	v_or_b32_e32 v4, s29, v6
	v_cmpx_ne_u64_e32 0, v[3:4]
	s_xor_b32 s1, exec_lo, s0
	s_cbranch_execz .LBB0_4
; %bb.3:                                ;   in Loop: Header=BB0_2 Depth=1
	v_cvt_f32_u32_e32 v4, s28
	v_cvt_f32_u32_e32 v8, s29
	s_sub_u32 s0, 0, s28
	s_subb_u32 s30, 0, s29
	v_fmac_f32_e32 v4, 0x4f800000, v8
	v_rcp_f32_e32 v4, v4
	v_mul_f32_e32 v4, 0x5f7ffffc, v4
	v_mul_f32_e32 v8, 0x2f800000, v4
	v_trunc_f32_e32 v8, v8
	v_fmac_f32_e32 v4, 0xcf800000, v8
	v_cvt_u32_f32_e32 v8, v8
	v_cvt_u32_f32_e32 v4, v4
	v_mul_lo_u32 v9, s0, v8
	v_mul_hi_u32 v10, s0, v4
	v_mul_lo_u32 v11, s30, v4
	v_add_nc_u32_e32 v9, v10, v9
	v_mul_lo_u32 v10, s0, v4
	v_add_nc_u32_e32 v9, v9, v11
	v_mul_hi_u32 v11, v4, v10
	v_mul_lo_u32 v12, v4, v9
	v_mul_hi_u32 v13, v4, v9
	v_mul_hi_u32 v14, v8, v10
	v_mul_lo_u32 v10, v8, v10
	v_mul_hi_u32 v15, v8, v9
	v_mul_lo_u32 v9, v8, v9
	v_add_co_u32 v11, vcc_lo, v11, v12
	v_add_co_ci_u32_e32 v12, vcc_lo, 0, v13, vcc_lo
	v_add_co_u32 v10, vcc_lo, v11, v10
	v_add_co_ci_u32_e32 v10, vcc_lo, v12, v14, vcc_lo
	v_add_co_ci_u32_e32 v11, vcc_lo, 0, v15, vcc_lo
	v_add_co_u32 v9, vcc_lo, v10, v9
	v_add_co_ci_u32_e32 v10, vcc_lo, 0, v11, vcc_lo
	v_add_co_u32 v4, vcc_lo, v4, v9
	v_add_co_ci_u32_e32 v8, vcc_lo, v8, v10, vcc_lo
	v_mul_hi_u32 v9, s0, v4
	v_mul_lo_u32 v11, s30, v4
	v_mul_lo_u32 v10, s0, v8
	v_add_nc_u32_e32 v9, v9, v10
	v_mul_lo_u32 v10, s0, v4
	v_add_nc_u32_e32 v9, v9, v11
	v_mul_hi_u32 v11, v4, v10
	v_mul_lo_u32 v12, v4, v9
	v_mul_hi_u32 v13, v4, v9
	v_mul_hi_u32 v14, v8, v10
	v_mul_lo_u32 v10, v8, v10
	v_mul_hi_u32 v15, v8, v9
	v_mul_lo_u32 v9, v8, v9
	v_add_co_u32 v11, vcc_lo, v11, v12
	v_add_co_ci_u32_e32 v12, vcc_lo, 0, v13, vcc_lo
	v_add_co_u32 v10, vcc_lo, v11, v10
	v_add_co_ci_u32_e32 v10, vcc_lo, v12, v14, vcc_lo
	v_add_co_ci_u32_e32 v11, vcc_lo, 0, v15, vcc_lo
	v_add_co_u32 v9, vcc_lo, v10, v9
	v_add_co_ci_u32_e32 v10, vcc_lo, 0, v11, vcc_lo
	v_add_co_u32 v4, vcc_lo, v4, v9
	v_add_co_ci_u32_e32 v12, vcc_lo, v8, v10, vcc_lo
	v_mul_hi_u32 v14, v5, v4
	v_mad_u64_u32 v[10:11], null, v6, v4, 0
	v_mad_u64_u32 v[8:9], null, v5, v12, 0
	;; [unrolled: 1-line block ×3, first 2 shown]
	v_add_co_u32 v4, vcc_lo, v14, v8
	v_add_co_ci_u32_e32 v8, vcc_lo, 0, v9, vcc_lo
	v_add_co_u32 v4, vcc_lo, v4, v10
	v_add_co_ci_u32_e32 v4, vcc_lo, v8, v11, vcc_lo
	v_add_co_ci_u32_e32 v8, vcc_lo, 0, v13, vcc_lo
	v_add_co_u32 v4, vcc_lo, v4, v12
	v_add_co_ci_u32_e32 v10, vcc_lo, 0, v8, vcc_lo
	v_mul_lo_u32 v11, s29, v4
	v_mad_u64_u32 v[8:9], null, s28, v4, 0
	v_mul_lo_u32 v12, s28, v10
	v_sub_co_u32 v8, vcc_lo, v5, v8
	v_add3_u32 v9, v9, v12, v11
	v_sub_nc_u32_e32 v11, v6, v9
	v_subrev_co_ci_u32_e64 v11, s0, s29, v11, vcc_lo
	v_add_co_u32 v12, s0, v4, 2
	v_add_co_ci_u32_e64 v13, s0, 0, v10, s0
	v_sub_co_u32 v14, s0, v8, s28
	v_sub_co_ci_u32_e32 v9, vcc_lo, v6, v9, vcc_lo
	v_subrev_co_ci_u32_e64 v11, s0, 0, v11, s0
	v_cmp_le_u32_e32 vcc_lo, s28, v14
	v_cmp_eq_u32_e64 s0, s29, v9
	v_cndmask_b32_e64 v14, 0, -1, vcc_lo
	v_cmp_le_u32_e32 vcc_lo, s29, v11
	v_cndmask_b32_e64 v15, 0, -1, vcc_lo
	v_cmp_le_u32_e32 vcc_lo, s28, v8
	v_cndmask_b32_e64 v8, 0, -1, vcc_lo
	v_cmp_le_u32_e32 vcc_lo, s29, v9
	v_cndmask_b32_e64 v16, 0, -1, vcc_lo
	v_cmp_eq_u32_e32 vcc_lo, s29, v11
	v_cndmask_b32_e64 v8, v16, v8, s0
	v_cndmask_b32_e32 v11, v15, v14, vcc_lo
	v_add_co_u32 v14, vcc_lo, v4, 1
	v_add_co_ci_u32_e32 v15, vcc_lo, 0, v10, vcc_lo
	v_cmp_ne_u32_e32 vcc_lo, 0, v11
	v_cndmask_b32_e32 v9, v15, v13, vcc_lo
	v_cndmask_b32_e32 v11, v14, v12, vcc_lo
	v_cmp_ne_u32_e32 vcc_lo, 0, v8
	v_cndmask_b32_e32 v51, v10, v9, vcc_lo
	v_cndmask_b32_e32 v50, v4, v11, vcc_lo
.LBB0_4:                                ;   in Loop: Header=BB0_2 Depth=1
	s_andn2_saveexec_b32 s0, s1
	s_cbranch_execz .LBB0_6
; %bb.5:                                ;   in Loop: Header=BB0_2 Depth=1
	v_cvt_f32_u32_e32 v4, s28
	s_sub_i32 s1, 0, s28
	v_mov_b32_e32 v51, v3
	v_rcp_iflag_f32_e32 v4, v4
	v_mul_f32_e32 v4, 0x4f7ffffe, v4
	v_cvt_u32_f32_e32 v4, v4
	v_mul_lo_u32 v8, s1, v4
	v_mul_hi_u32 v8, v4, v8
	v_add_nc_u32_e32 v4, v4, v8
	v_mul_hi_u32 v4, v5, v4
	v_mul_lo_u32 v8, v4, s28
	v_add_nc_u32_e32 v9, 1, v4
	v_sub_nc_u32_e32 v8, v5, v8
	v_subrev_nc_u32_e32 v10, s28, v8
	v_cmp_le_u32_e32 vcc_lo, s28, v8
	v_cndmask_b32_e32 v8, v8, v10, vcc_lo
	v_cndmask_b32_e32 v4, v4, v9, vcc_lo
	v_cmp_le_u32_e32 vcc_lo, s28, v8
	v_add_nc_u32_e32 v9, 1, v4
	v_cndmask_b32_e32 v50, v4, v9, vcc_lo
.LBB0_6:                                ;   in Loop: Header=BB0_2 Depth=1
	s_or_b32 exec_lo, exec_lo, s0
	v_mul_lo_u32 v4, v51, s28
	v_mul_lo_u32 v10, v50, s29
	s_load_dwordx2 s[0:1], s[22:23], 0x0
	v_mad_u64_u32 v[8:9], null, v50, s28, 0
	s_load_dwordx2 s[28:29], s[6:7], 0x0
	s_add_u32 s26, s26, 1
	s_addc_u32 s27, s27, 0
	s_add_u32 s6, s6, 8
	s_addc_u32 s7, s7, 0
	s_add_u32 s22, s22, 8
	v_add3_u32 v4, v9, v10, v4
	v_sub_co_u32 v5, vcc_lo, v5, v8
	s_addc_u32 s23, s23, 0
	s_add_u32 s24, s24, 8
	v_sub_co_ci_u32_e32 v4, vcc_lo, v6, v4, vcc_lo
	s_addc_u32 s25, s25, 0
	s_waitcnt lgkmcnt(0)
	v_mul_lo_u32 v6, s0, v4
	v_mul_lo_u32 v8, s1, v5
	v_mad_u64_u32 v[1:2], null, s0, v5, v[1:2]
	v_mul_lo_u32 v4, s28, v4
	v_mul_lo_u32 v9, s29, v5
	v_mad_u64_u32 v[48:49], null, s28, v5, v[48:49]
	v_cmp_ge_u64_e64 s0, s[26:27], s[14:15]
	v_add3_u32 v2, v8, v2, v6
	v_add3_u32 v49, v9, v49, v4
	s_and_b32 vcc_lo, exec_lo, s0
	s_cbranch_vccnz .LBB0_9
; %bb.7:                                ;   in Loop: Header=BB0_2 Depth=1
	v_mov_b32_e32 v5, v50
	v_mov_b32_e32 v6, v51
	s_branch .LBB0_2
.LBB0_8:
	v_mov_b32_e32 v49, v2
	v_mov_b32_e32 v51, v6
	;; [unrolled: 1-line block ×4, first 2 shown]
.LBB0_9:
	s_load_dwordx2 s[0:1], s[4:5], 0x28
	v_mul_hi_u32 v3, 0x13b13b14, v0
	s_lshl_b64 s[6:7], s[14:15], 3
	v_and_b32_e32 v4, 3, v7
	s_add_u32 s4, s18, s6
	s_addc_u32 s5, s19, s7
                                        ; implicit-def: $vgpr56
                                        ; implicit-def: $vgpr60
	s_waitcnt lgkmcnt(0)
	v_cmp_gt_u64_e32 vcc_lo, s[0:1], v[50:51]
	v_cmp_le_u64_e64 s0, s[0:1], v[50:51]
	s_and_saveexec_b32 s1, s0
	s_xor_b32 s0, exec_lo, s1
; %bb.10:
	v_mul_u32_u24_e32 v1, 13, v3
                                        ; implicit-def: $vgpr3
	v_sub_nc_u32_e32 v56, v0, v1
                                        ; implicit-def: $vgpr0
                                        ; implicit-def: $vgpr1_vgpr2
	v_add_nc_u32_e32 v60, 13, v56
; %bb.11:
	s_or_saveexec_b32 s1, s0
	v_mul_u32_u24_e32 v4, 0x145, v4
	v_lshlrev_b32_e32 v61, 3, v4
	s_xor_b32 exec_lo, exec_lo, s1
	s_cbranch_execz .LBB0_13
; %bb.12:
	s_add_u32 s6, s16, s6
	s_addc_u32 s7, s17, s7
	v_mul_u32_u24_e32 v3, 13, v3
	s_load_dwordx2 s[6:7], s[6:7], 0x0
	v_sub_nc_u32_e32 v56, v0, v3
	v_lshlrev_b64 v[0:1], 3, v[1:2]
	v_mad_u64_u32 v[3:4], null, s20, v56, 0
	v_add_nc_u32_e32 v60, 13, v56
	v_add_nc_u32_e32 v17, 26, v56
	;; [unrolled: 1-line block ×5, first 2 shown]
	v_mad_u64_u32 v[5:6], null, s20, v60, 0
	v_mov_b32_e32 v2, v4
	v_mad_u64_u32 v[7:8], null, s20, v17, 0
	s_waitcnt lgkmcnt(0)
	v_mul_lo_u32 v4, s7, v50
	v_mul_lo_u32 v14, s6, v51
	v_mad_u64_u32 v[9:10], null, s6, v50, 0
	v_mad_u64_u32 v[11:12], null, s21, v56, v[2:3]
	v_mov_b32_e32 v2, v6
	v_mov_b32_e32 v6, v8
	v_mad_u64_u32 v[12:13], null, s20, v18, 0
	v_add3_u32 v10, v10, v14, v4
	v_mad_u64_u32 v[14:15], null, s21, v60, v[2:3]
	v_mov_b32_e32 v4, v11
	v_mad_u64_u32 v[15:16], null, s20, v19, 0
	v_lshlrev_b64 v[8:9], 3, v[9:10]
	v_mad_u64_u32 v[10:11], null, s21, v17, v[6:7]
	v_lshlrev_b64 v[3:4], 3, v[3:4]
	v_mov_b32_e32 v6, v14
	v_mov_b32_e32 v2, v13
	v_add_co_u32 v11, s0, s8, v8
	v_add_co_ci_u32_e64 v9, s0, s9, v9, s0
	v_mov_b32_e32 v8, v10
	v_add_co_u32 v64, s0, v11, v0
	v_add_co_ci_u32_e64 v65, s0, v9, v1, s0
	v_lshlrev_b64 v[0:1], 3, v[5:6]
	v_add_co_u32 v3, s0, v64, v3
	v_add_nc_u32_e32 v17, 0x41, v56
	v_add_co_ci_u32_e64 v4, s0, v65, v4, s0
	v_mad_u64_u32 v[5:6], null, s21, v18, v[2:3]
	v_lshlrev_b64 v[6:7], 3, v[7:8]
	v_add_co_u32 v0, s0, v64, v0
	v_add_co_ci_u32_e64 v1, s0, v65, v1, s0
	v_mov_b32_e32 v2, v16
	v_mad_u64_u32 v[8:9], null, s20, v17, 0
	v_mov_b32_e32 v13, v5
	v_add_co_u32 v5, s0, v64, v6
	v_add_co_ci_u32_e64 v6, s0, v65, v7, s0
	v_add_nc_u32_e32 v7, 0x4e, v56
	v_mad_u64_u32 v[10:11], null, s21, v19, v[2:3]
	v_lshlrev_b64 v[11:12], 3, v[12:13]
	v_mov_b32_e32 v2, v9
	v_mad_u64_u32 v[13:14], null, s20, v7, 0
	v_add_nc_u32_e32 v46, 0xf7, v56
	v_add_nc_u32_e32 v54, 0x111, v56
	v_mov_b32_e32 v16, v10
	v_mad_u64_u32 v[9:10], null, s21, v17, v[2:3]
	v_add_co_u32 v10, s0, v64, v11
	v_add_co_ci_u32_e64 v11, s0, v65, v12, s0
	v_add_nc_u32_e32 v12, 0x5b, v56
	v_mov_b32_e32 v2, v14
	v_mad_u64_u32 v[42:43], null, s20, v46, 0
	v_add_nc_u32_e32 v57, 0x11e, v56
	v_mad_u64_u32 v[17:18], null, s20, v12, 0
	v_mad_u64_u32 v[19:20], null, s21, v7, v[2:3]
	v_lshlrev_b64 v[7:8], 3, v[8:9]
	v_add_nc_u32_e32 v9, 0x75, v56
	v_lshlrev_b64 v[15:16], 3, v[15:16]
	v_mov_b32_e32 v2, v18
	v_mov_b32_e32 v14, v19
	v_mad_u64_u32 v[19:20], null, s20, v23, 0
	v_mad_u64_u32 v[21:22], null, s21, v12, v[2:3]
	v_lshlrev_b64 v[12:13], 3, v[13:14]
	v_add_nc_u32_e32 v14, 0x82, v56
	v_add_co_u32 v15, s0, v64, v15
	v_mov_b32_e32 v2, v20
	v_add_co_ci_u32_e64 v16, s0, v65, v16, s0
	v_mov_b32_e32 v18, v21
	v_mad_u64_u32 v[21:22], null, s20, v9, 0
	v_mad_u64_u32 v[23:24], null, s21, v23, v[2:3]
	v_add_co_u32 v7, s0, v64, v7
	v_lshlrev_b64 v[17:18], 3, v[17:18]
	v_add_co_ci_u32_e64 v8, s0, v65, v8, s0
	v_mov_b32_e32 v2, v22
	v_mov_b32_e32 v20, v23
	v_mad_u64_u32 v[23:24], null, s20, v14, 0
	v_add_co_u32 v12, s0, v64, v12
	v_mad_u64_u32 v[25:26], null, s21, v9, v[2:3]
	v_add_nc_u32_e32 v9, 0x8f, v56
	v_add_co_ci_u32_e64 v13, s0, v65, v13, s0
	v_mov_b32_e32 v2, v24
	v_add_co_u32 v17, s0, v64, v17
	v_mov_b32_e32 v22, v25
	v_mad_u64_u32 v[25:26], null, s20, v9, 0
	v_mad_u64_u32 v[27:28], null, s21, v14, v[2:3]
	v_add_nc_u32_e32 v14, 0x9c, v56
	v_add_co_ci_u32_e64 v18, s0, v65, v18, s0
	v_lshlrev_b64 v[19:20], 3, v[19:20]
	v_mov_b32_e32 v2, v26
	v_lshlrev_b64 v[21:22], 3, v[21:22]
	v_mov_b32_e32 v24, v27
	v_mad_u64_u32 v[27:28], null, s20, v14, 0
	v_mad_u64_u32 v[29:30], null, s21, v9, v[2:3]
	v_add_nc_u32_e32 v9, 0xa9, v56
	v_add_co_u32 v19, s0, v64, v19
	v_lshlrev_b64 v[23:24], 3, v[23:24]
	v_mov_b32_e32 v2, v28
	v_add_co_ci_u32_e64 v20, s0, v65, v20, s0
	v_mov_b32_e32 v26, v29
	v_mad_u64_u32 v[29:30], null, s20, v9, 0
	v_mad_u64_u32 v[31:32], null, s21, v14, v[2:3]
	v_add_nc_u32_e32 v14, 0xb6, v56
	v_add_co_u32 v21, s0, v64, v21
	v_lshlrev_b64 v[25:26], 3, v[25:26]
	v_mov_b32_e32 v2, v30
	v_add_co_ci_u32_e64 v22, s0, v65, v22, s0
	;; [unrolled: 8-line block ×3, first 2 shown]
	v_mov_b32_e32 v30, v33
	v_mad_u64_u32 v[33:34], null, s20, v9, 0
	v_mad_u64_u32 v[35:36], null, s21, v14, v[2:3]
	v_or_b32_e32 v14, 0xd0, v56
	v_add_co_u32 v25, s0, v64, v25
	v_lshlrev_b64 v[29:30], 3, v[29:30]
	v_mov_b32_e32 v2, v34
	v_mad_u64_u32 v[36:37], null, s20, v14, 0
	v_mov_b32_e32 v32, v35
	v_add_co_ci_u32_e64 v26, s0, v65, v26, s0
	v_mad_u64_u32 v[34:35], null, s21, v9, v[2:3]
	v_add_nc_u32_e32 v9, 0xdd, v56
	v_mov_b32_e32 v2, v37
	v_add_co_u32 v27, s0, v64, v27
	v_lshlrev_b64 v[31:32], 3, v[31:32]
	v_add_co_ci_u32_e64 v28, s0, v65, v28, s0
	v_mad_u64_u32 v[37:38], null, s21, v14, v[2:3]
	v_mad_u64_u32 v[38:39], null, s20, v9, 0
	v_add_nc_u32_e32 v14, 0xea, v56
	v_add_co_u32 v29, s0, v64, v29
	v_lshlrev_b64 v[33:34], 3, v[33:34]
	v_lshlrev_b64 v[35:36], 3, v[36:37]
	v_mad_u64_u32 v[40:41], null, s20, v14, 0
	v_mov_b32_e32 v2, v39
	v_add_co_ci_u32_e64 v30, s0, v65, v30, s0
	v_add_co_u32 v31, s0, v64, v31
	v_mad_u64_u32 v[44:45], null, s21, v9, v[2:3]
	v_mov_b32_e32 v2, v41
	v_mov_b32_e32 v9, v43
	v_add_co_ci_u32_e64 v32, s0, v65, v32, s0
	v_add_co_u32 v33, s0, v64, v33
	v_mov_b32_e32 v39, v44
	v_mad_u64_u32 v[43:44], null, s21, v14, v[2:3]
	v_mad_u64_u32 v[44:45], null, s21, v46, v[9:10]
	v_add_nc_u32_e32 v14, 0x104, v56
	v_mad_u64_u32 v[46:47], null, s20, v54, 0
	v_lshlrev_b64 v[37:38], 3, v[38:39]
	v_mov_b32_e32 v41, v43
	v_add_co_ci_u32_e64 v34, s0, v65, v34, s0
	v_mov_b32_e32 v43, v44
	v_mad_u64_u32 v[44:45], null, s20, v14, 0
	v_mov_b32_e32 v9, v47
	v_lshlrev_b64 v[39:40], 3, v[40:41]
	v_lshlrev_b64 v[41:42], 3, v[42:43]
	v_add_co_u32 v35, s0, v64, v35
	v_add_co_ci_u32_e64 v36, s0, v65, v36, s0
	v_mov_b32_e32 v2, v45
	v_add_co_u32 v37, s0, v64, v37
	v_add_co_ci_u32_e64 v38, s0, v65, v38, s0
	v_mad_u64_u32 v[52:53], null, s21, v14, v[2:3]
	v_mad_u64_u32 v[53:54], null, s21, v54, v[9:10]
	;; [unrolled: 1-line block ×3, first 2 shown]
	v_add_nc_u32_e32 v9, 0x12b, v56
	v_add_co_u32 v39, s0, v64, v39
	v_mov_b32_e32 v45, v52
	v_mov_b32_e32 v47, v53
	v_mad_u64_u32 v[52:53], null, s20, v9, 0
	v_mov_b32_e32 v2, v55
	v_lshlrev_b64 v[43:44], 3, v[44:45]
	v_lshlrev_b64 v[45:46], 3, v[46:47]
	v_add_nc_u32_e32 v47, 0x138, v56
	v_add_co_ci_u32_e64 v40, s0, v65, v40, s0
	v_mad_u64_u32 v[57:58], null, s21, v57, v[2:3]
	v_mov_b32_e32 v2, v53
	v_add_co_u32 v41, s0, v64, v41
	v_add_co_ci_u32_e64 v42, s0, v65, v42, s0
	v_add_co_u32 v43, s0, v64, v43
	v_mov_b32_e32 v55, v57
	v_mad_u64_u32 v[57:58], null, s21, v9, v[2:3]
	s_clause 0x7
	global_load_dwordx2 v[2:3], v[3:4], off
	global_load_dwordx2 v[0:1], v[0:1], off
	;; [unrolled: 1-line block ×8, first 2 shown]
	v_mad_u64_u32 v[58:59], null, s20, v47, 0
	v_lshlrev_b64 v[54:55], 3, v[54:55]
	v_add_co_ci_u32_e64 v44, s0, v65, v44, s0
	v_mov_b32_e32 v53, v57
	v_add_co_u32 v45, s0, v64, v45
	v_mov_b32_e32 v8, v59
	v_add_co_ci_u32_e64 v46, s0, v65, v46, s0
	v_lshlrev_b64 v[52:53], 3, v[52:53]
	v_add_co_u32 v54, s0, v64, v54
	v_add_co_ci_u32_e64 v55, s0, v65, v55, s0
	s_clause 0x3
	global_load_dwordx2 v[18:19], v[19:20], off
	global_load_dwordx2 v[20:21], v[21:22], off
	;; [unrolled: 1-line block ×4, first 2 shown]
	v_add_co_u32 v52, s0, v64, v52
	v_add_co_ci_u32_e64 v53, s0, v65, v53, s0
	s_clause 0x7
	global_load_dwordx2 v[26:27], v[27:28], off
	global_load_dwordx2 v[28:29], v[29:30], off
	;; [unrolled: 1-line block ×8, first 2 shown]
	s_waitcnt vmcnt(16)
	v_mad_u64_u32 v[62:63], null, s21, v47, v[8:9]
	v_lshlrev_b32_e32 v8, 3, v56
	v_add3_u32 v8, 0, v61, v8
	v_mov_b32_e32 v59, v62
	v_add_nc_u32_e32 v13, 0x800, v8
	v_lshlrev_b64 v[57:58], 3, v[58:59]
	v_add_co_u32 v57, s0, v64, v57
	v_add_co_ci_u32_e64 v58, s0, v65, v58, s0
	s_clause 0x4
	global_load_dwordx2 v[42:43], v[43:44], off
	global_load_dwordx2 v[44:45], v[45:46], off
	global_load_dwordx2 v[46:47], v[54:55], off
	global_load_dwordx2 v[52:53], v[52:53], off
	global_load_dwordx2 v[54:55], v[57:58], off
	ds_write2_b64 v8, v[2:3], v[0:1] offset1:13
	ds_write2_b64 v8, v[4:5], v[9:10] offset0:26 offset1:39
	s_waitcnt vmcnt(19)
	ds_write2_b64 v8, v[14:15], v[6:7] offset0:52 offset1:65
	s_waitcnt vmcnt(17)
	;; [unrolled: 2-line block ×11, first 2 shown]
	ds_write_b64 v8, v[54:55] offset:2496
.LBB0_13:
	s_or_b32 exec_lo, exec_lo, s1
	v_lshlrev_b32_e32 v4, 3, v56
	v_add_nc_u32_e32 v58, 0, v61
	s_load_dwordx2 s[4:5], s[4:5], 0x0
	s_waitcnt lgkmcnt(0)
	s_barrier
	v_add_nc_u32_e32 v0, 0, v4
	v_add_nc_u32_e32 v62, v58, v4
	buffer_gl0_inv
	s_mov_b32 s1, exec_lo
	v_add_nc_u32_e32 v57, v0, v61
	ds_read2_b64 v[8:11], v57 offset0:63 offset1:75
	ds_read2_b64 v[0:3], v57 offset0:238 offset1:250
	;; [unrolled: 1-line block ×4, first 2 shown]
	v_add_nc_u32_e32 v59, 0x800, v57
	ds_read2_b64 v[32:35], v57 offset0:113 offset1:125
	ds_read2_b64 v[28:31], v57 offset0:188 offset1:200
	;; [unrolled: 1-line block ×3, first 2 shown]
	ds_read_b64 v[54:55], v62
	ds_read2_b64 v[20:23], v59 offset0:32 offset1:44
	ds_read2_b64 v[36:39], v57 offset0:38 offset1:50
	;; [unrolled: 1-line block ×5, first 2 shown]
	ds_read_b64 v[52:53], v57 offset:2504
	s_waitcnt lgkmcnt(0)
	s_barrier
	buffer_gl0_inv
	v_sub_f32_e32 v80, v35, v31
	v_add_f32_e32 v63, v30, v34
	v_add_f32_e32 v73, v54, v6
	v_sub_f32_e32 v83, v7, v23
	v_add_f32_e32 v81, v55, v7
	v_add_f32_e32 v71, v22, v6
	;; [unrolled: 1-line block ×3, first 2 shown]
	v_sub_f32_e32 v85, v39, v27
	v_mul_f32_e32 v75, 0xbeedf032, v83
	v_sub_f32_e32 v77, v11, v3
	v_sub_f32_e32 v72, v6, v22
	v_add_f32_e32 v69, v26, v38
	v_add_f32_e32 v84, v27, v39
	v_add_f32_e32 v86, v73, v38
	v_mul_f32_e32 v73, 0x3f62ad3f, v82
	v_mul_f32_e32 v74, 0xbf52af12, v85
	v_fmamk_f32 v87, v71, 0x3f62ad3f, v75
	v_add_f32_e32 v39, v81, v39
	v_add_f32_e32 v66, v2, v10
	v_add_f32_e32 v76, v3, v11
	v_sub_f32_e32 v70, v38, v26
	v_mul_f32_e32 v68, 0xbf7e222b, v77
	v_mul_f32_e32 v38, 0x3f116cb1, v84
	v_fmamk_f32 v81, v72, 0x3eedf032, v73
	v_fmamk_f32 v88, v69, 0x3f116cb1, v74
	v_add_f32_e32 v87, v54, v87
	v_add_f32_e32 v86, v86, v10
	;; [unrolled: 1-line block ×3, first 2 shown]
	v_sub_f32_e32 v67, v10, v2
	v_sub_f32_e32 v78, v19, v15
	v_add_f32_e32 v64, v14, v18
	v_add_f32_e32 v79, v15, v19
	v_sub_f32_e32 v65, v18, v14
	v_mul_f32_e32 v6, 0x3df6dbef, v76
	v_fmamk_f32 v89, v66, 0x3df6dbef, v68
	v_fmamk_f32 v91, v70, 0x3f52af12, v38
	v_add_f32_e32 v81, v55, v81
	v_add_f32_e32 v87, v88, v87
	;; [unrolled: 1-line block ×4, first 2 shown]
	v_mul_f32_e32 v7, 0xbf6f5d39, v78
	v_fmamk_f32 v90, v67, 0x3f7e222b, v6
	v_add_f32_e32 v39, v91, v81
	v_add_f32_e32 v81, v89, v87
	v_mul_f32_e32 v10, 0xbeb58ec6, v79
	v_add_f32_e32 v18, v18, v34
	v_add_f32_e32 v87, v19, v35
	v_fmamk_f32 v88, v64, 0xbeb58ec6, v7
	v_add_f32_e32 v39, v90, v39
	v_mul_f32_e32 v11, 0xbf29c268, v80
	v_fmamk_f32 v86, v65, 0x3f6f5d39, v10
	v_add_f32_e32 v89, v18, v46
	v_sub_f32_e32 v19, v34, v30
	v_add_f32_e32 v34, v87, v47
	v_add_f32_e32 v81, v88, v81
	v_add_f32_e32 v35, v31, v35
	v_fmamk_f32 v88, v63, 0xbf3f9e67, v11
	v_add_f32_e32 v39, v86, v39
	v_add_f32_e32 v86, v89, v42
	;; [unrolled: 1-line block ×3, first 2 shown]
	v_mul_f32_e32 v18, 0xbf3f9e67, v35
	v_add_f32_e32 v81, v88, v81
	v_sub_f32_e32 v88, v47, v43
	v_add_f32_e32 v86, v86, v30
	v_add_f32_e32 v89, v34, v31
	;; [unrolled: 1-line block ×3, first 2 shown]
	v_fmamk_f32 v87, v19, 0x3f29c268, v18
	v_sub_f32_e32 v34, v46, v42
	v_add_f32_e32 v47, v86, v14
	v_add_f32_e32 v15, v89, v15
	v_mul_f32_e32 v14, 0xbf788fa5, v43
	v_add_f32_e32 v30, v42, v46
	v_mul_f32_e32 v31, 0xbe750f2a, v88
	v_add_f32_e32 v39, v87, v39
	v_add_f32_e32 v2, v47, v2
	v_add_f32_e32 v3, v15, v3
	v_fmamk_f32 v15, v34, 0x3e750f2a, v14
	v_fmamk_f32 v42, v30, 0xbf788fa5, v31
	v_mul_f32_e32 v86, 0xbe750f2a, v77
	v_add_f32_e32 v26, v2, v26
	v_add_f32_e32 v27, v3, v27
	;; [unrolled: 1-line block ×3, first 2 shown]
	v_mul_f32_e32 v15, 0xbf52af12, v83
	v_add_f32_e32 v2, v42, v81
	v_add_f32_e32 v22, v26, v22
	v_mul_f32_e32 v42, 0xbf6f5d39, v85
	v_mul_f32_e32 v39, 0x3f116cb1, v82
	v_fmamk_f32 v26, v71, 0x3f116cb1, v15
	v_add_f32_e32 v23, v27, v23
	v_mul_f32_e32 v46, 0xbeb58ec6, v84
	v_fmamk_f32 v47, v69, 0xbeb58ec6, v42
	v_fmamk_f32 v27, v72, 0x3f52af12, v39
	v_add_f32_e32 v26, v54, v26
	v_mul_f32_e32 v89, 0x3f29c268, v78
	v_fmamk_f32 v81, v70, 0x3f6f5d39, v46
	v_mul_f32_e32 v87, 0xbf788fa5, v76
	v_add_f32_e32 v27, v55, v27
	v_add_f32_e32 v26, v47, v26
	v_fmamk_f32 v47, v66, 0xbf788fa5, v86
	v_mad_u32_u24 v91, 0x68, v56, v58
	v_mul_f32_e32 v90, 0xbf3f9e67, v79
	v_add_f32_e32 v27, v81, v27
	v_fmamk_f32 v81, v67, 0x3e750f2a, v87
	v_add_f32_e32 v26, v47, v26
	v_fmamk_f32 v47, v64, 0xbf3f9e67, v89
	v_mul_f32_e32 v92, 0x3f7e222b, v80
	ds_write2_b64 v91, v[22:23], v[2:3] offset1:1
	v_add_f32_e32 v27, v81, v27
	v_fmamk_f32 v81, v65, 0xbf29c268, v90
	v_add_f32_e32 v2, v47, v26
	v_mul_f32_e32 v47, 0xbf7e222b, v83
	v_mul_f32_e32 v93, 0x3df6dbef, v35
	v_fmamk_f32 v22, v63, 0x3df6dbef, v92
	v_mul_f32_e32 v94, 0xbe750f2a, v85
	v_mul_f32_e32 v95, 0x3df6dbef, v82
	v_fmamk_f32 v26, v71, 0x3df6dbef, v47
	v_add_f32_e32 v3, v81, v27
	v_fmamk_f32 v23, v19, 0xbf7e222b, v93
	v_add_f32_e32 v2, v22, v2
	;; [unrolled: 2-line block ×3, first 2 shown]
	v_fmamk_f32 v26, v69, 0xbf788fa5, v94
	v_mul_f32_e32 v97, 0xbf788fa5, v84
	v_mul_f32_e32 v98, 0x3f6f5d39, v77
	v_add_f32_e32 v3, v23, v3
	v_add_f32_e32 v23, v55, v27
	;; [unrolled: 1-line block ×3, first 2 shown]
	v_fmamk_f32 v26, v70, 0x3e750f2a, v97
	v_fmamk_f32 v27, v66, 0xbeb58ec6, v98
	v_mul_f32_e32 v99, 0xbeb58ec6, v76
	v_mul_f32_e32 v100, 0x3eedf032, v78
	;; [unrolled: 1-line block ×4, first 2 shown]
	v_add_f32_e32 v23, v26, v23
	v_add_f32_e32 v22, v27, v22
	v_fmamk_f32 v26, v67, 0xbf6f5d39, v99
	v_fmamk_f32 v27, v64, 0x3f62ad3f, v100
	v_mul_f32_e32 v102, 0x3f62ad3f, v79
	v_mul_f32_e32 v103, 0xbf52af12, v80
	v_fmamk_f32 v101, v30, 0x3f62ad3f, v81
	v_fmamk_f32 v104, v34, 0xbeedf032, v96
	v_add_f32_e32 v23, v26, v23
	v_add_f32_e32 v22, v27, v22
	v_fmamk_f32 v26, v65, 0xbeedf032, v102
	v_fmamk_f32 v27, v63, 0x3f116cb1, v103
	v_mul_f32_e32 v105, 0x3f116cb1, v35
	v_mul_f32_e32 v106, 0xbf29c268, v88
	v_add_f32_e32 v2, v101, v2
	v_add_f32_e32 v23, v26, v23
	;; [unrolled: 1-line block ×3, first 2 shown]
	v_fmamk_f32 v26, v19, 0x3f52af12, v105
	v_fmamk_f32 v27, v30, 0xbf3f9e67, v106
	v_mul_f32_e32 v101, 0xbf6f5d39, v83
	v_add_f32_e32 v3, v104, v3
	v_mul_f32_e32 v104, 0xbeb58ec6, v82
	v_add_f32_e32 v23, v26, v23
	v_add_f32_e32 v22, v27, v22
	v_fmamk_f32 v26, v71, 0xbeb58ec6, v101
	v_mul_f32_e32 v27, 0x3f29c268, v85
	v_fmamk_f32 v107, v72, 0x3f6f5d39, v104
	v_mul_f32_e32 v108, 0xbf3f9e67, v84
	v_mul_f32_e32 v109, 0xbf3f9e67, v43
	v_add_f32_e32 v26, v54, v26
	v_fmamk_f32 v110, v69, 0xbf3f9e67, v27
	v_add_f32_e32 v107, v55, v107
	v_fmamk_f32 v111, v70, 0xbf29c268, v108
	v_mul_f32_e32 v112, 0x3eedf032, v77
	v_mul_f32_e32 v113, 0x3f62ad3f, v76
	v_fmamk_f32 v114, v34, 0x3f29c268, v109
	v_add_f32_e32 v26, v110, v26
	v_add_f32_e32 v107, v111, v107
	v_fmamk_f32 v110, v66, 0x3f62ad3f, v112
	v_fmamk_f32 v111, v67, 0xbeedf032, v113
	v_mul_f32_e32 v115, 0xbf7e222b, v78
	v_mul_f32_e32 v116, 0x3df6dbef, v79
	v_add_f32_e32 v23, v114, v23
	v_add_f32_e32 v26, v110, v26
	;; [unrolled: 1-line block ×3, first 2 shown]
	v_fmamk_f32 v110, v64, 0x3df6dbef, v115
	v_fmamk_f32 v111, v65, 0x3f7e222b, v116
	v_mul_f32_e32 v114, 0x3e750f2a, v80
	v_mul_f32_e32 v117, 0xbf788fa5, v35
	ds_write2_b64 v91, v[2:3], v[22:23] offset0:2 offset1:3
	v_add_f32_e32 v2, v110, v26
	v_add_f32_e32 v3, v111, v107
	v_fmamk_f32 v22, v63, 0xbf788fa5, v114
	v_fmamk_f32 v23, v19, 0xbe750f2a, v117
	v_mul_f32_e32 v26, 0x3f52af12, v88
	v_mul_f32_e32 v107, 0x3f116cb1, v43
	;; [unrolled: 1-line block ×3, first 2 shown]
	v_add_f32_e32 v2, v22, v2
	v_add_f32_e32 v3, v23, v3
	v_fmamk_f32 v22, v30, 0x3f116cb1, v26
	v_fmamk_f32 v23, v34, 0xbf52af12, v107
	;; [unrolled: 1-line block ×3, first 2 shown]
	v_mul_f32_e32 v118, 0x3f7e222b, v85
	v_mul_f32_e32 v119, 0xbf3f9e67, v82
	v_add_f32_e32 v2, v22, v2
	v_add_f32_e32 v3, v23, v3
	;; [unrolled: 1-line block ×3, first 2 shown]
	v_fmamk_f32 v23, v69, 0x3df6dbef, v118
	v_fmamk_f32 v111, v72, 0x3f29c268, v119
	v_mul_f32_e32 v120, 0x3df6dbef, v84
	v_mul_f32_e32 v82, 0xbf788fa5, v82
	v_fmac_f32_e32 v104, 0xbf6f5d39, v72
	v_add_f32_e32 v22, v23, v22
	v_add_f32_e32 v23, v55, v111
	v_fmamk_f32 v111, v70, 0xbf7e222b, v120
	v_fma_f32 v27, 0xbf3f9e67, v69, -v27
	v_fmac_f32_e32 v108, 0x3f29c268, v70
	v_fmac_f32_e32 v113, 0x3eedf032, v67
	;; [unrolled: 1-line block ×3, first 2 shown]
	v_add_f32_e32 v23, v111, v23
	v_mul_f32_e32 v111, 0xbf52af12, v77
	v_mul_f32_e32 v77, 0xbf29c268, v77
	v_fmac_f32_e32 v117, 0x3e750f2a, v19
	v_fma_f32 v26, 0x3f116cb1, v30, -v26
	v_fmac_f32_e32 v107, 0x3f52af12, v34
	v_fmamk_f32 v121, v66, 0x3f116cb1, v111
	v_fma_f32 v15, 0x3f116cb1, v71, -v15
	v_fmac_f32_e32 v39, 0xbf52af12, v72
	v_fma_f32 v42, 0xbeb58ec6, v69, -v42
	v_fmac_f32_e32 v46, 0xbf6f5d39, v70
	v_add_f32_e32 v22, v121, v22
	v_mul_f32_e32 v121, 0x3f116cb1, v76
	v_mul_f32_e32 v76, 0xbf3f9e67, v76
	v_add_f32_e32 v15, v54, v15
	v_add_f32_e32 v39, v55, v39
	v_fmac_f32_e32 v119, 0xbf29c268, v72
	v_fmamk_f32 v122, v67, 0x3f52af12, v121
	v_fmac_f32_e32 v95, 0xbf7e222b, v72
	v_add_f32_e32 v15, v42, v15
	v_add_f32_e32 v39, v46, v39
	v_fma_f32 v46, 0xbf788fa5, v66, -v86
	v_add_f32_e32 v23, v122, v23
	v_mul_f32_e32 v122, 0x3e750f2a, v78
	v_mul_f32_e32 v78, 0x3f52af12, v78
	v_fmac_f32_e32 v73, 0xbeedf032, v72
	v_add_f32_e32 v15, v46, v15
	v_fmac_f32_e32 v120, 0x3f7e222b, v70
	v_fmamk_f32 v123, v64, 0xbf788fa5, v122
	v_fmac_f32_e32 v97, 0xbe750f2a, v70
	v_fmac_f32_e32 v38, 0xbf52af12, v70
	;; [unrolled: 1-line block ×4, first 2 shown]
	v_add_f32_e32 v22, v123, v22
	v_mul_f32_e32 v123, 0xbf788fa5, v79
	v_mul_f32_e32 v79, 0x3f116cb1, v79
	v_fmac_f32_e32 v99, 0x3f6f5d39, v67
	v_fmac_f32_e32 v6, 0xbf7e222b, v67
	v_add_f32_e32 v39, v87, v39
	v_fmamk_f32 v124, v65, 0xbe750f2a, v123
	v_fmac_f32_e32 v123, 0x3e750f2a, v65
	v_fmac_f32_e32 v90, 0x3f29c268, v65
	;; [unrolled: 1-line block ×3, first 2 shown]
	v_fma_f32 v7, 0xbeb58ec6, v64, -v7
	v_add_f32_e32 v23, v124, v23
	v_mul_f32_e32 v124, 0x3eedf032, v80
	v_mul_f32_e32 v80, 0xbf6f5d39, v80
	v_fmac_f32_e32 v10, 0xbf6f5d39, v65
	v_add_f32_e32 v39, v90, v39
	v_fmac_f32_e32 v93, 0x3f7e222b, v19
	v_fmamk_f32 v125, v63, 0x3f62ad3f, v124
	v_fma_f32 v42, 0x3f62ad3f, v63, -v124
	v_fmac_f32_e32 v105, 0xbf52af12, v19
	v_fmac_f32_e32 v18, 0xbf29c268, v19
	v_add_f32_e32 v39, v93, v39
	v_add_f32_e32 v22, v125, v22
	v_mul_f32_e32 v125, 0x3f62ad3f, v35
	v_mul_f32_e32 v35, 0xbeb58ec6, v35
	v_fmac_f32_e32 v96, 0x3eedf032, v34
	v_fmac_f32_e32 v109, 0xbf29c268, v34
	;; [unrolled: 1-line block ×3, first 2 shown]
	v_fmamk_f32 v126, v19, 0xbeedf032, v125
	v_fmac_f32_e32 v125, 0x3eedf032, v19
	v_add_f32_e32 v23, v126, v23
	v_mul_f32_e32 v126, 0xbf6f5d39, v88
	v_fmamk_f32 v127, v30, 0xbeb58ec6, v126
	v_fma_f32 v46, 0xbeb58ec6, v30, -v126
	v_add_f32_e32 v22, v127, v22
	v_mul_f32_e32 v127, 0xbeb58ec6, v43
	v_mul_f32_e32 v43, 0x3df6dbef, v43
	v_fmamk_f32 v128, v34, 0x3f6f5d39, v127
	v_fmac_f32_e32 v127, 0xbf6f5d39, v34
	v_add_f32_e32 v23, v128, v23
	ds_write2_b64 v91, v[2:3], v[22:23] offset0:4 offset1:5
	v_mul_f32_e32 v22, 0xbe750f2a, v83
	v_mul_f32_e32 v23, 0x3eedf032, v85
	;; [unrolled: 1-line block ×3, first 2 shown]
	v_fmamk_f32 v2, v71, 0xbf788fa5, v22
	v_fmamk_f32 v3, v69, 0x3f62ad3f, v23
	;; [unrolled: 1-line block ×3, first 2 shown]
	v_fma_f32 v22, 0xbf788fa5, v71, -v22
	v_fma_f32 v23, 0x3f62ad3f, v69, -v23
	v_add_f32_e32 v2, v54, v2
	v_fmac_f32_e32 v83, 0x3eedf032, v70
	v_add_f32_e32 v22, v54, v22
	v_add_f32_e32 v2, v3, v2
	v_fmamk_f32 v3, v72, 0x3e750f2a, v82
	v_fmac_f32_e32 v82, 0xbe750f2a, v72
	v_add_f32_e32 v22, v23, v22
	v_add_f32_e32 v3, v55, v3
	;; [unrolled: 1-line block ×4, first 2 shown]
	v_fmamk_f32 v84, v66, 0xbf3f9e67, v77
	v_add_f32_e32 v23, v83, v23
	v_fma_f32 v77, 0xbf3f9e67, v66, -v77
	v_add_f32_e32 v2, v84, v2
	v_fmamk_f32 v84, v67, 0x3f29c268, v76
	v_fmac_f32_e32 v76, 0xbf29c268, v67
	v_add_f32_e32 v22, v77, v22
	v_fma_f32 v77, 0xbeb58ec6, v63, -v80
	v_add_f32_e32 v3, v84, v3
	v_fmamk_f32 v84, v64, 0x3f116cb1, v78
	v_add_f32_e32 v23, v76, v23
	v_fma_f32 v76, 0x3f116cb1, v64, -v78
	v_add_f32_e32 v78, v55, v104
	v_add_f32_e32 v2, v84, v2
	v_fmamk_f32 v84, v65, 0xbf52af12, v79
	v_add_f32_e32 v22, v76, v22
	v_fma_f32 v76, 0xbeb58ec6, v71, -v101
	v_fmac_f32_e32 v79, 0x3f52af12, v65
	v_add_f32_e32 v3, v84, v3
	v_fmamk_f32 v84, v63, 0xbeb58ec6, v80
	v_add_f32_e32 v76, v54, v76
	v_add_f32_e32 v23, v79, v23
	;; [unrolled: 1-line block ×5, first 2 shown]
	v_fmamk_f32 v84, v19, 0x3f6f5d39, v35
	v_fmac_f32_e32 v35, 0xbf6f5d39, v19
	v_add_f32_e32 v27, v27, v76
	v_fma_f32 v76, 0x3f62ad3f, v66, -v112
	v_add_f32_e32 v77, v113, v77
	v_add_f32_e32 v3, v84, v3
	v_mul_f32_e32 v84, 0x3f7e222b, v88
	v_add_f32_e32 v23, v35, v23
	v_add_f32_e32 v27, v76, v27
	v_fma_f32 v76, 0x3df6dbef, v64, -v115
	v_fma_f32 v19, 0xbf3f9e67, v30, -v106
	v_fmamk_f32 v85, v30, 0x3df6dbef, v84
	v_fma_f32 v35, 0x3df6dbef, v30, -v84
	v_add_f32_e32 v27, v76, v27
	v_add_f32_e32 v76, v116, v77
	v_add_f32_e32 v2, v85, v2
	v_fmamk_f32 v85, v34, 0xbf7e222b, v43
	v_fmac_f32_e32 v43, 0x3f7e222b, v34
	v_add_f32_e32 v22, v35, v22
	v_fma_f32 v35, 0xbf788fa5, v63, -v114
	v_add_f32_e32 v77, v55, v119
	v_add_f32_e32 v3, v85, v3
	v_add_f32_e32 v23, v43, v23
	v_fma_f32 v43, 0xbf3f9e67, v71, -v110
	v_add_f32_e32 v27, v35, v27
	v_add_f32_e32 v35, v117, v76
	v_fma_f32 v76, 0x3df6dbef, v69, -v118
	v_add_f32_e32 v77, v120, v77
	v_add_f32_e32 v43, v54, v43
	;; [unrolled: 1-line block ×5, first 2 shown]
	v_fma_f32 v76, 0x3f116cb1, v66, -v111
	v_add_f32_e32 v35, v76, v43
	v_fma_f32 v76, 0xbf788fa5, v64, -v122
	v_add_f32_e32 v43, v121, v77
	v_add_f32_e32 v35, v76, v35
	v_fma_f32 v76, 0x3df6dbef, v63, -v92
	v_add_f32_e32 v43, v123, v43
	;; [unrolled: 3-line block ×3, first 2 shown]
	v_add_f32_e32 v15, v42, v15
	v_add_f32_e32 v42, v46, v35
	v_fma_f32 v35, 0x3df6dbef, v71, -v47
	v_fma_f32 v46, 0x3f62ad3f, v30, -v81
	v_fma_f32 v47, 0xbf788fa5, v69, -v94
	v_add_f32_e32 v15, v76, v15
	v_add_f32_e32 v76, v55, v95
	;; [unrolled: 1-line block ×3, first 2 shown]
	v_fma_f32 v30, 0xbf788fa5, v30, -v31
	v_add_f32_e32 v43, v127, v43
	v_add_f32_e32 v46, v46, v15
	;; [unrolled: 1-line block ×3, first 2 shown]
	v_fma_f32 v35, 0x3f62ad3f, v71, -v75
	v_add_f32_e32 v47, v97, v76
	v_fma_f32 v71, 0xbeb58ec6, v66, -v98
	v_add_f32_e32 v35, v54, v35
	v_add_f32_e32 v54, v55, v73
	v_fma_f32 v55, 0x3f116cb1, v69, -v74
	v_add_f32_e32 v15, v71, v15
	;; [unrolled: 3-line block ×3, first 2 shown]
	v_add_f32_e32 v35, v55, v35
	v_fma_f32 v54, 0x3df6dbef, v66, -v68
	v_fma_f32 v55, 0x3f116cb1, v63, -v103
	v_add_f32_e32 v15, v69, v15
	v_add_f32_e32 v6, v6, v38
	;; [unrolled: 1-line block ×7, first 2 shown]
	v_fma_f32 v10, 0xbf3f9e67, v63, -v11
	v_add_f32_e32 v7, v7, v35
	v_add_f32_e32 v11, v105, v38
	;; [unrolled: 1-line block ×8, first 2 shown]
	ds_write2_b64 v91, v[2:3], v[22:23] offset0:6 offset1:7
	ds_write2_b64 v91, v[42:43], v[26:27] offset0:8 offset1:9
	;; [unrolled: 1-line block ×3, first 2 shown]
	ds_write_b64 v91, v[10:11] offset:96
	v_cmpx_gt_u32_e32 12, v56
	s_cbranch_execz .LBB0_15
; %bb.14:
	v_add_f32_e32 v42, v53, v37
	v_sub_f32_e32 v22, v36, v52
	v_add_f32_e32 v43, v21, v9
	v_sub_f32_e32 v15, v8, v20
	v_add_f32_e32 v46, v25, v17
	v_mul_f32_e32 v47, 0xbf788fa5, v42
	v_sub_f32_e32 v18, v16, v24
	v_mul_f32_e32 v55, 0x3f62ad3f, v43
	v_add_f32_e32 v54, v1, v33
	v_mul_f32_e32 v64, 0xbf3f9e67, v46
	v_fmamk_f32 v2, v22, 0x3e750f2a, v47
	v_sub_f32_e32 v65, v37, v53
	v_fmamk_f32 v3, v15, 0xbeedf032, v55
	v_sub_f32_e32 v14, v32, v0
	v_add_f32_e32 v23, v52, v36
	v_add_f32_e32 v2, v5, v2
	v_mul_f32_e32 v66, 0x3f116cb1, v54
	v_fmamk_f32 v6, v18, 0x3f29c268, v64
	v_mul_f32_e32 v67, 0xbe750f2a, v65
	v_sub_f32_e32 v68, v9, v21
	v_add_f32_e32 v2, v3, v2
	v_add_f32_e32 v26, v20, v8
	v_fmamk_f32 v3, v14, 0xbf52af12, v66
	v_sub_f32_e32 v70, v17, v25
	v_mul_f32_e32 v69, 0x3eedf032, v68
	v_add_f32_e32 v2, v6, v2
	v_fmamk_f32 v6, v23, 0xbf788fa5, v67
	v_add_f32_e32 v63, v13, v45
	v_add_f32_e32 v30, v24, v16
	v_mul_f32_e32 v72, 0xbf29c268, v70
	v_add_f32_e32 v2, v3, v2
	v_add_f32_e32 v3, v4, v6
	v_fmamk_f32 v6, v26, 0x3f62ad3f, v69
	v_sub_f32_e32 v73, v33, v1
	v_sub_f32_e32 v19, v44, v12
	v_mul_f32_e32 v71, 0xbeb58ec6, v63
	v_add_f32_e32 v74, v29, v41
	v_add_f32_e32 v3, v6, v3
	v_fmamk_f32 v6, v30, 0xbf3f9e67, v72
	v_add_f32_e32 v31, v0, v32
	v_mul_f32_e32 v75, 0x3f52af12, v73
	v_sub_f32_e32 v77, v45, v13
	v_fmamk_f32 v7, v19, 0x3f6f5d39, v71
	v_mul_f32_e32 v76, 0x3df6dbef, v74
	v_sub_f32_e32 v27, v40, v28
	v_add_f32_e32 v3, v6, v3
	v_fmamk_f32 v6, v31, 0x3f116cb1, v75
	v_add_f32_e32 v34, v12, v44
	v_mul_f32_e32 v78, 0xbf6f5d39, v77
	v_mul_f32_e32 v79, 0xbf3f9e67, v42
	v_add_f32_e32 v2, v7, v2
	v_fmamk_f32 v7, v27, 0xbf7e222b, v76
	v_add_f32_e32 v6, v6, v3
	v_fmamk_f32 v10, v34, 0xbeb58ec6, v78
	v_fmamk_f32 v11, v22, 0x3f29c268, v79
	v_mul_f32_e32 v80, 0x3df6dbef, v43
	v_add_f32_e32 v3, v7, v2
	v_sub_f32_e32 v81, v41, v29
	v_add_f32_e32 v2, v10, v6
	v_add_f32_e32 v6, v5, v11
	v_fmamk_f32 v7, v15, 0xbf7e222b, v80
	v_mul_f32_e32 v82, 0x3f116cb1, v46
	v_mul_f32_e32 v84, 0xbf29c268, v65
	v_add_f32_e32 v35, v28, v40
	v_mul_f32_e32 v83, 0x3f7e222b, v81
	v_add_f32_e32 v6, v7, v6
	v_fmamk_f32 v7, v18, 0x3f52af12, v82
	v_mul_f32_e32 v85, 0xbf788fa5, v54
	v_fmamk_f32 v11, v23, 0xbf3f9e67, v84
	v_mul_f32_e32 v86, 0x3f7e222b, v68
	v_fmamk_f32 v10, v35, 0x3df6dbef, v83
	v_add_f32_e32 v6, v7, v6
	v_fmamk_f32 v7, v14, 0xbe750f2a, v85
	v_mul_f32_e32 v87, 0x3f62ad3f, v63
	v_add_f32_e32 v11, v4, v11
	v_fmamk_f32 v38, v26, 0x3df6dbef, v86
	v_mul_f32_e32 v88, 0xbf52af12, v70
	v_add_f32_e32 v6, v7, v6
	v_fmamk_f32 v7, v19, 0xbeedf032, v87
	v_add_f32_e32 v2, v10, v2
	v_add_f32_e32 v10, v38, v11
	v_fmamk_f32 v11, v30, 0x3f116cb1, v88
	v_mul_f32_e32 v89, 0x3e750f2a, v73
	v_mul_f32_e32 v90, 0xbeb58ec6, v74
	v_mul_f32_e32 v91, 0xbeb58ec6, v42
	v_add_f32_e32 v6, v7, v6
	v_add_f32_e32 v7, v11, v10
	v_fmamk_f32 v10, v31, 0xbf788fa5, v89
	v_fmamk_f32 v11, v27, 0x3f6f5d39, v90
	;; [unrolled: 1-line block ×3, first 2 shown]
	v_mul_f32_e32 v93, 0xbf3f9e67, v43
	v_mul_f32_e32 v92, 0x3eedf032, v77
	v_add_f32_e32 v10, v10, v7
	v_add_f32_e32 v7, v11, v6
	;; [unrolled: 1-line block ×3, first 2 shown]
	v_fmamk_f32 v11, v15, 0xbf29c268, v93
	v_mul_f32_e32 v94, 0x3f62ad3f, v46
	v_fmamk_f32 v39, v34, 0x3f62ad3f, v92
	v_mul_f32_e32 v96, 0xbf6f5d39, v65
	v_mul_f32_e32 v97, 0x3df6dbef, v54
	v_add_f32_e32 v6, v11, v6
	v_fmamk_f32 v11, v18, 0xbeedf032, v94
	v_add_f32_e32 v10, v39, v10
	v_mul_f32_e32 v95, 0xbf6f5d39, v81
	v_fmamk_f32 v39, v23, 0xbeb58ec6, v96
	v_mul_f32_e32 v98, 0x3f29c268, v68
	v_add_f32_e32 v6, v11, v6
	v_fmamk_f32 v11, v14, 0x3f7e222b, v97
	v_mul_f32_e32 v99, 0xbf788fa5, v63
	v_fmamk_f32 v38, v35, 0xbeb58ec6, v95
	v_add_f32_e32 v39, v4, v39
	v_fmamk_f32 v100, v26, 0xbf3f9e67, v98
	v_mul_f32_e32 v101, 0x3eedf032, v70
	v_add_f32_e32 v11, v11, v6
	v_fmamk_f32 v102, v19, 0xbe750f2a, v99
	v_add_f32_e32 v6, v38, v10
	v_add_f32_e32 v10, v100, v39
	v_fmamk_f32 v38, v30, 0x3f62ad3f, v101
	v_mul_f32_e32 v100, 0xbf7e222b, v73
	v_add_f32_e32 v11, v102, v11
	v_mul_f32_e32 v102, 0x3df6dbef, v42
	v_mul_f32_e32 v103, 0x3f116cb1, v74
	v_add_f32_e32 v10, v38, v10
	v_fmamk_f32 v38, v31, 0x3df6dbef, v100
	v_mul_f32_e32 v104, 0x3e750f2a, v77
	v_fmamk_f32 v39, v22, 0x3f7e222b, v102
	v_mul_f32_e32 v105, 0xbf788fa5, v43
	v_fmamk_f32 v106, v27, 0xbf52af12, v103
	v_add_f32_e32 v10, v38, v10
	v_fmamk_f32 v38, v34, 0xbf788fa5, v104
	v_add_f32_e32 v39, v5, v39
	v_fmamk_f32 v107, v15, 0x3e750f2a, v105
	v_mul_f32_e32 v108, 0xbeb58ec6, v46
	v_add_f32_e32 v11, v106, v11
	v_mul_f32_e32 v106, 0xbf7e222b, v65
	v_add_f32_e32 v10, v38, v10
	v_add_f32_e32 v38, v107, v39
	v_fmamk_f32 v39, v18, 0xbf6f5d39, v108
	v_mul_f32_e32 v107, 0x3f62ad3f, v54
	v_mul_f32_e32 v109, 0x3f52af12, v81
	v_fmamk_f32 v110, v23, 0x3df6dbef, v106
	v_mul_f32_e32 v111, 0xbe750f2a, v68
	v_add_f32_e32 v38, v39, v38
	v_fmamk_f32 v39, v14, 0xbeedf032, v107
	v_mul_f32_e32 v112, 0x3f116cb1, v63
	v_add_f32_e32 v110, v4, v110
	v_fmamk_f32 v113, v26, 0xbf788fa5, v111
	v_mul_f32_e32 v114, 0x3f6f5d39, v70
	v_fmamk_f32 v115, v35, 0x3f116cb1, v109
	v_add_f32_e32 v38, v39, v38
	v_fmamk_f32 v39, v19, 0x3f52af12, v112
	v_add_f32_e32 v110, v113, v110
	v_fmamk_f32 v113, v30, 0xbeb58ec6, v114
	v_mul_f32_e32 v116, 0x3eedf032, v73
	v_add_f32_e32 v10, v115, v10
	v_mul_f32_e32 v115, 0x3f116cb1, v42
	v_add_f32_e32 v38, v39, v38
	v_add_f32_e32 v39, v113, v110
	v_fmamk_f32 v110, v31, 0x3f62ad3f, v116
	v_mul_f32_e32 v113, 0xbf52af12, v77
	v_fmamk_f32 v118, v22, 0x3f52af12, v115
	v_mul_f32_e32 v119, 0xbeb58ec6, v43
	v_mul_f32_e32 v117, 0xbf3f9e67, v74
	v_add_f32_e32 v39, v110, v39
	v_fmamk_f32 v110, v34, 0x3f116cb1, v113
	v_mul_f32_e32 v120, 0xbf29c268, v81
	v_add_f32_e32 v118, v5, v118
	v_fmamk_f32 v121, v15, 0x3f6f5d39, v119
	v_mul_f32_e32 v122, 0xbf788fa5, v46
	v_fmamk_f32 v123, v27, 0x3f29c268, v117
	v_add_f32_e32 v110, v110, v39
	v_fmamk_f32 v124, v35, 0xbf3f9e67, v120
	v_add_f32_e32 v118, v121, v118
	v_fmamk_f32 v121, v18, 0x3e750f2a, v122
	v_mul_f32_e32 v125, 0xbf3f9e67, v54
	v_add_f32_e32 v39, v123, v38
	v_add_f32_e32 v38, v124, v110
	v_mul_f32_e32 v123, 0xbf52af12, v65
	v_add_f32_e32 v110, v121, v118
	v_fmamk_f32 v118, v14, 0xbf29c268, v125
	v_mul_f32_e32 v121, 0x3df6dbef, v63
	v_add_f32_e32 v37, v5, v37
	v_add_f32_e32 v36, v4, v36
	v_fmamk_f32 v124, v23, 0x3f116cb1, v123
	v_add_f32_e32 v110, v118, v110
	v_fmamk_f32 v118, v19, 0xbf7e222b, v121
	v_mul_f32_e32 v126, 0xbf6f5d39, v68
	v_add_f32_e32 v37, v37, v9
	v_add_f32_e32 v8, v36, v8
	;; [unrolled: 1-line block ×4, first 2 shown]
	v_mul_f32_e32 v118, 0x3f62ad3f, v74
	v_fmamk_f32 v124, v26, 0xbeb58ec6, v126
	v_mul_f32_e32 v127, 0xbe750f2a, v70
	v_mul_f32_e32 v42, 0x3f62ad3f, v42
	;; [unrolled: 1-line block ×3, first 2 shown]
	v_fmamk_f32 v9, v27, 0xbeedf032, v118
	v_add_f32_e32 v36, v124, v36
	v_add_f32_e32 v17, v37, v17
	v_fmamk_f32 v124, v22, 0x3eedf032, v42
	v_mul_f32_e32 v37, 0x3f29c268, v73
	v_add_f32_e32 v9, v9, v110
	v_fmamk_f32 v110, v30, 0xbf788fa5, v127
	v_add_f32_e32 v16, v8, v16
	v_add_f32_e32 v8, v5, v124
	v_fmamk_f32 v124, v15, 0x3f52af12, v43
	v_mul_f32_e32 v46, 0x3df6dbef, v46
	v_add_f32_e32 v36, v110, v36
	v_fmamk_f32 v110, v31, 0xbf3f9e67, v37
	v_mul_f32_e32 v128, 0x3f7e222b, v77
	;; [unrolled: 3-line block ×5, first 2 shown]
	v_add_f32_e32 v36, v110, v36
	v_fmamk_f32 v110, v35, 0x3f62ad3f, v129
	v_add_f32_e32 v17, v17, v33
	v_add_f32_e32 v124, v124, v8
	v_fmamk_f32 v33, v23, 0x3f62ad3f, v65
	v_add_f32_e32 v16, v16, v32
	v_add_f32_e32 v8, v110, v36
	v_mul_f32_e32 v36, 0xbf52af12, v68
	v_add_f32_e32 v17, v17, v45
	v_add_f32_e32 v32, v4, v33
	v_mul_f32_e32 v45, 0xbf7e222b, v70
	v_add_f32_e32 v16, v16, v44
	v_fmamk_f32 v33, v26, 0x3f116cb1, v36
	v_add_f32_e32 v17, v17, v41
	v_fmac_f32_e32 v79, 0xbf29c268, v22
	v_fmac_f32_e32 v80, 0x3f7e222b, v15
	v_add_f32_e32 v16, v16, v40
	v_add_f32_e32 v32, v33, v32
	v_fmamk_f32 v33, v30, 0x3df6dbef, v45
	v_add_f32_e32 v17, v17, v29
	v_mul_f32_e32 v40, 0xbf6f5d39, v73
	v_add_f32_e32 v16, v16, v28
	v_fmac_f32_e32 v82, 0xbf52af12, v18
	v_add_f32_e32 v32, v33, v32
	v_add_f32_e32 v17, v17, v13
	v_fmamk_f32 v28, v31, 0xbeb58ec6, v40
	v_mul_f32_e32 v33, 0xbf29c268, v77
	v_add_f32_e32 v12, v16, v12
	v_fmac_f32_e32 v85, 0x3e750f2a, v14
	v_add_f32_e32 v1, v17, v1
	v_add_f32_e32 v16, v28, v32
	v_fmamk_f32 v17, v34, 0xbf3f9e67, v33
	v_mul_f32_e32 v32, 0xbe750f2a, v81
	v_add_f32_e32 v0, v12, v0
	v_add_f32_e32 v1, v1, v25
	v_mul_f32_e32 v63, 0xbf3f9e67, v63
	v_add_f32_e32 v12, v17, v16
	v_fmamk_f32 v16, v35, 0xbf788fa5, v32
	v_add_f32_e32 v0, v0, v24
	v_add_f32_e32 v1, v1, v21
	;; [unrolled: 1-line block ×3, first 2 shown]
	v_fma_f32 v24, 0xbf3f9e67, v23, -v84
	v_add_f32_e32 v12, v16, v12
	v_fma_f32 v16, 0xbf788fa5, v23, -v67
	v_add_f32_e32 v0, v0, v20
	;; [unrolled: 2-line block ×3, first 2 shown]
	v_fmac_f32_e32 v87, 0x3eedf032, v19
	v_add_f32_e32 v16, v4, v16
	v_fmamk_f32 v130, v19, 0x3f29c268, v63
	v_mul_f32_e32 v41, 0xbf788fa5, v74
	v_add_f32_e32 v21, v82, v21
	v_add_f32_e32 v24, v4, v24
	;; [unrolled: 1-line block ×3, first 2 shown]
	v_fma_f32 v20, 0xbf3f9e67, v30, -v72
	v_fma_f32 v25, 0x3df6dbef, v26, -v86
	v_add_f32_e32 v21, v85, v21
	v_fmac_f32_e32 v91, 0xbf6f5d39, v22
	v_fmac_f32_e32 v90, 0xbf6f5d39, v27
	v_add_f32_e32 v16, v20, v16
	v_fma_f32 v20, 0x3f116cb1, v31, -v75
	v_add_f32_e32 v68, v130, v124
	v_fmamk_f32 v29, v27, 0x3e750f2a, v41
	v_add_f32_e32 v24, v25, v24
	v_fma_f32 v25, 0x3f116cb1, v30, -v88
	v_add_f32_e32 v16, v20, v16
	v_fma_f32 v20, 0xbeb58ec6, v34, -v78
	v_add_f32_e32 v28, v5, v91
	v_fmac_f32_e32 v93, 0x3f29c268, v15
	v_add_f32_e32 v13, v29, v68
	v_add_f32_e32 v24, v25, v24
	;; [unrolled: 1-line block ×3, first 2 shown]
	v_fma_f32 v20, 0x3df6dbef, v35, -v83
	v_fma_f32 v25, 0xbf788fa5, v31, -v89
	v_add_f32_e32 v28, v93, v28
	v_fmac_f32_e32 v94, 0x3eedf032, v18
	v_fma_f32 v29, 0xbf3f9e67, v26, -v98
	v_add_f32_e32 v16, v20, v16
	v_add_f32_e32 v20, v87, v21
	;; [unrolled: 1-line block ×3, first 2 shown]
	v_fma_f32 v25, 0x3f62ad3f, v34, -v92
	v_add_f32_e32 v28, v94, v28
	v_fmac_f32_e32 v97, 0xbf7e222b, v14
	v_add_f32_e32 v21, v90, v20
	v_fma_f32 v20, 0xbeb58ec6, v23, -v96
	v_add_f32_e32 v24, v25, v24
	v_fma_f32 v25, 0xbeb58ec6, v35, -v95
	v_add_f32_e32 v28, v97, v28
	v_fmac_f32_e32 v99, 0x3e750f2a, v19
	v_add_f32_e32 v20, v4, v20
	v_fma_f32 v44, 0x3df6dbef, v31, -v100
	v_fmac_f32_e32 v102, 0xbf7e222b, v22
	v_fmac_f32_e32 v103, 0x3f52af12, v27
	;; [unrolled: 1-line block ×3, first 2 shown]
	v_add_f32_e32 v20, v29, v20
	v_fma_f32 v29, 0x3f62ad3f, v30, -v101
	v_fmac_f32_e32 v47, 0xbe750f2a, v22
	v_fmac_f32_e32 v108, 0x3f6f5d39, v18
	v_add_f32_e32 v0, v0, v52
	v_fma_f32 v52, 0xbf788fa5, v26, -v111
	v_add_f32_e32 v29, v29, v20
	v_add_f32_e32 v20, v25, v24
	;; [unrolled: 1-line block ×4, first 2 shown]
	v_fmac_f32_e32 v115, 0xbf52af12, v22
	v_add_f32_e32 v28, v44, v29
	v_fma_f32 v29, 0xbf788fa5, v34, -v104
	v_add_f32_e32 v44, v5, v102
	v_add_f32_e32 v25, v103, v24
	v_fma_f32 v24, 0x3df6dbef, v23, -v106
	v_fmac_f32_e32 v107, 0x3eedf032, v14
	v_add_f32_e32 v28, v29, v28
	v_fma_f32 v29, 0x3f116cb1, v35, -v109
	v_add_f32_e32 v44, v105, v44
	v_add_f32_e32 v47, v4, v24
	v_fmac_f32_e32 v119, 0xbf6f5d39, v15
	v_fmac_f32_e32 v112, 0xbf52af12, v19
	v_add_f32_e32 v24, v29, v28
	v_add_f32_e32 v28, v108, v44
	;; [unrolled: 1-line block ×3, first 2 shown]
	v_fma_f32 v44, 0xbeb58ec6, v30, -v114
	v_add_f32_e32 v47, v5, v115
	v_fmac_f32_e32 v122, 0xbe750f2a, v18
	v_add_f32_e32 v28, v107, v28
	v_fmac_f32_e32 v117, 0xbf29c268, v27
	v_add_f32_e32 v29, v44, v29
	v_fma_f32 v44, 0x3f62ad3f, v31, -v116
	v_add_f32_e32 v47, v119, v47
	v_add_f32_e32 v28, v112, v28
	v_fmac_f32_e32 v55, 0x3eedf032, v15
	v_fma_f32 v52, 0x3f116cb1, v34, -v113
	v_add_f32_e32 v44, v44, v29
	v_add_f32_e32 v47, v122, v47
	v_fmac_f32_e32 v125, 0x3f29c268, v14
	v_add_f32_e32 v29, v117, v28
	v_fma_f32 v28, 0x3f116cb1, v23, -v123
	v_fmac_f32_e32 v42, 0xbeedf032, v22
	v_fma_f32 v23, 0x3f62ad3f, v23, -v65
	v_add_f32_e32 v1, v1, v53
	v_add_f32_e32 v17, v55, v17
	v_add_f32_e32 v44, v52, v44
	v_fma_f32 v52, 0xbf3f9e67, v35, -v120
	v_add_f32_e32 v47, v125, v47
	v_fmac_f32_e32 v121, 0x3f7e222b, v19
	v_add_f32_e32 v53, v4, v28
	v_fma_f32 v55, 0xbeb58ec6, v26, -v126
	v_add_f32_e32 v5, v5, v42
	v_fmac_f32_e32 v43, 0xbf52af12, v15
	v_add_f32_e32 v4, v4, v23
	v_fma_f32 v15, 0x3f116cb1, v26, -v36
	v_fmac_f32_e32 v64, 0xbf29c268, v18
	v_add_f32_e32 v28, v52, v44
	v_add_f32_e32 v22, v121, v47
	;; [unrolled: 1-line block ×3, first 2 shown]
	v_fma_f32 v47, 0xbf788fa5, v30, -v127
	v_add_f32_e32 v5, v43, v5
	v_fmac_f32_e32 v46, 0xbf7e222b, v18
	v_add_f32_e32 v4, v15, v4
	v_fma_f32 v15, 0x3df6dbef, v30, -v45
	v_add_f32_e32 v17, v64, v17
	v_fmac_f32_e32 v66, 0x3f52af12, v14
	v_add_f32_e32 v23, v47, v44
	;; [unrolled: 4-line block ×5, first 2 shown]
	v_fma_f32 v14, 0xbf3f9e67, v34, -v33
	v_mul_i32_i24_e32 v19, 0x68, v60
	v_add_f32_e32 v17, v71, v17
	v_fmac_f32_e32 v76, 0x3f7e222b, v27
	v_fmac_f32_e32 v118, 0x3eedf032, v27
	v_add_f32_e32 v15, v23, v18
	v_fma_f32 v18, 0x3f62ad3f, v35, -v129
	v_add_f32_e32 v23, v63, v5
	v_fmac_f32_e32 v41, 0xbe750f2a, v27
	v_add_f32_e32 v14, v14, v4
	v_fma_f32 v26, 0xbf788fa5, v35, -v32
	v_add3_u32 v19, 0, v19, v61
	v_add_f32_e32 v17, v76, v17
	v_add_f32_e32 v5, v118, v22
	;; [unrolled: 1-line block ×5, first 2 shown]
	ds_write2_b64 v19, v[0:1], v[12:13] offset1:1
	ds_write2_b64 v19, v[8:9], v[38:39] offset0:2 offset1:3
	ds_write2_b64 v19, v[10:11], v[6:7] offset0:4 offset1:5
	;; [unrolled: 1-line block ×5, first 2 shown]
	ds_write_b64 v19, v[14:15] offset:96
.LBB0_15:
	s_or_b32 exec_lo, exec_lo, s1
	v_lshlrev_b32_e32 v7, 2, v56
	v_mov_b32_e32 v8, 0
	v_add_nc_u32_e32 v17, 26, v56
	v_add_nc_u32_e32 v18, 39, v56
	;; [unrolled: 1-line block ×3, first 2 shown]
	s_waitcnt lgkmcnt(0)
	v_lshlrev_b64 v[0:1], 3, v[7:8]
	s_barrier
	buffer_gl0_inv
	v_and_b32_e32 v2, 0xff, v16
	v_mov_b32_e32 v3, 5
	v_lshlrev_b32_e32 v11, 3, v60
	v_add_co_u32 v9, s0, s12, v0
	v_and_b32_e32 v0, 0xff, v17
	v_add_co_ci_u32_e64 v10, s0, s13, v1, s0
	v_and_b32_e32 v1, 0xff, v18
	s_clause 0x1
	global_load_dwordx4 v[22:25], v[9:10], off
	global_load_dwordx4 v[26:29], v[9:10], off offset:16
	v_mul_lo_u16 v0, 0x4f, v0
	v_mul_lo_u16 v1, 0x4f, v1
	v_add3_u32 v15, 0, v11, v61
	v_lshrrev_b16 v0, 10, v0
	v_lshrrev_b16 v1, 10, v1
	v_mul_lo_u16 v0, v0, 13
	v_mul_lo_u16 v1, v1, 13
	v_sub_nc_u16 v21, v17, v0
	v_mul_lo_u16 v0, 0x4f, v2
	v_sub_nc_u16 v19, v18, v1
	v_lshlrev_b32_sdwa v2, v3, v21 dst_sel:DWORD dst_unused:UNUSED_PAD src0_sel:DWORD src1_sel:BYTE_0
	v_lshrrev_b16 v0, 10, v0
	v_lshlrev_b32_sdwa v1, v3, v19 dst_sel:DWORD dst_unused:UNUSED_PAD src0_sel:DWORD src1_sel:BYTE_0
	global_load_dwordx4 v[30:33], v2, s[12:13]
	v_mul_lo_u16 v0, v0, 13
	s_clause 0x1
	global_load_dwordx4 v[38:41], v1, s[12:13]
	global_load_dwordx4 v[34:37], v2, s[12:13] offset:16
	v_sub_nc_u16 v20, v16, v0
	v_lshlrev_b32_sdwa v0, v3, v20 dst_sel:DWORD dst_unused:UNUSED_PAD src0_sel:DWORD src1_sel:BYTE_0
	s_clause 0x2
	global_load_dwordx4 v[42:45], v1, s[12:13] offset:16
	global_load_dwordx4 v[52:55], v0, s[12:13]
	global_load_dwordx4 v[63:66], v0, s[12:13] offset:16
	ds_read2_b64 v[0:3], v57 offset0:52 offset1:65
	ds_read2_b64 v[67:70], v57 offset0:130 offset1:143
	;; [unrolled: 1-line block ×5, first 2 shown]
	ds_read_b64 v[13:14], v62
	ds_read2_b64 v[83:86], v57 offset0:208 offset1:221
	ds_read2_b64 v[4:7], v57 offset0:26 offset1:39
	;; [unrolled: 1-line block ×6, first 2 shown]
	ds_read_b64 v[11:12], v15
	ds_read_b64 v[46:47], v57 offset:2496
	s_waitcnt vmcnt(0) lgkmcnt(0)
	s_barrier
	buffer_gl0_inv
	v_mul_f32_e32 v103, v3, v23
	v_mul_f32_e32 v104, v2, v23
	;; [unrolled: 1-line block ×16, first 2 shown]
	v_fmac_f32_e32 v103, v2, v22
	v_fma_f32 v2, v3, v22, -v104
	v_fmac_f32_e32 v105, v67, v24
	v_fma_f32 v3, v68, v24, -v106
	;; [unrolled: 2-line block ×4, first 2 shown]
	v_fmac_f32_e32 v111, v79, v22
	v_fmac_f32_e32 v112, v69, v24
	;; [unrolled: 1-line block ×4, first 2 shown]
	v_fma_f32 v22, v80, v22, -v23
	v_fma_f32 v24, v70, v24, -v25
	;; [unrolled: 1-line block ×4, first 2 shown]
	v_add_f32_e32 v23, v13, v103
	v_add_f32_e32 v25, v105, v107
	v_sub_f32_e32 v73, v2, v68
	v_sub_f32_e32 v26, v103, v105
	;; [unrolled: 1-line block ×3, first 2 shown]
	v_add_f32_e32 v28, v103, v109
	v_sub_f32_e32 v29, v105, v103
	v_add_f32_e32 v76, v14, v2
	v_add_f32_e32 v77, v3, v67
	v_sub_f32_e32 v78, v103, v109
	v_sub_f32_e32 v80, v2, v3
	;; [unrolled: 1-line block ×3, first 2 shown]
	v_add_f32_e32 v84, v2, v68
	v_sub_f32_e32 v2, v3, v2
	v_sub_f32_e32 v103, v67, v68
	v_add_f32_e32 v104, v11, v111
	v_add_f32_e32 v106, v112, v113
	v_sub_f32_e32 v115, v111, v112
	v_sub_f32_e32 v116, v114, v113
	v_add_f32_e32 v117, v111, v114
	v_sub_f32_e32 v118, v112, v111
	v_sub_f32_e32 v119, v113, v114
	;; [unrolled: 1-line block ×5, first 2 shown]
	v_add_f32_e32 v120, v12, v22
	v_sub_f32_e32 v122, v112, v113
	v_sub_f32_e32 v123, v22, v24
	;; [unrolled: 1-line block ×3, first 2 shown]
	v_add_f32_e32 v125, v22, v70
	v_sub_f32_e32 v126, v24, v22
	v_add_f32_e32 v105, v23, v105
	v_fma_f32 v22, -0.5, v25, v13
	v_add_f32_e32 v128, v26, v27
	v_add_f32_e32 v25, v76, v3
	v_fma_f32 v23, -0.5, v77, v14
	v_add_f32_e32 v76, v80, v83
	v_fmac_f32_e32 v14, -0.5, v84
	v_add_f32_e32 v77, v2, v103
	v_add_f32_e32 v26, v104, v112
	v_fma_f32 v2, -0.5, v106, v11
	v_add_f32_e32 v80, v115, v116
	v_fma_f32 v11, -0.5, v117, v11
	v_add_f32_e32 v83, v118, v119
	v_mul_f32_e32 v106, v88, v33
	v_mul_f32_e32 v112, v86, v35
	;; [unrolled: 1-line block ×6, first 2 shown]
	v_sub_f32_e32 v74, v3, v67
	v_add_f32_e32 v121, v24, v69
	v_fma_f32 v13, -0.5, v28, v13
	v_add_f32_e32 v75, v29, v75
	v_add_f32_e32 v29, v120, v24
	;; [unrolled: 1-line block ×3, first 2 shown]
	v_mul_f32_e32 v104, v82, v31
	v_mul_f32_e32 v28, v81, v31
	;; [unrolled: 1-line block ×12, first 2 shown]
	v_fmamk_f32 v27, v79, 0xbf737871, v14
	v_fmac_f32_e32 v14, 0x3f737871, v79
	v_fmac_f32_e32 v106, v87, v32
	;; [unrolled: 1-line block ×7, first 2 shown]
	v_sub_f32_e32 v110, v24, v69
	v_sub_f32_e32 v127, v69, v70
	v_fma_f32 v3, -0.5, v121, v12
	v_mul_f32_e32 v120, v98, v53
	v_mul_f32_e32 v53, v97, v53
	v_mul_f32_e32 v121, v72, v55
	v_mul_f32_e32 v123, v102, v64
	v_add_f32_e32 v105, v105, v107
	v_add_f32_e32 v67, v25, v67
	;; [unrolled: 1-line block ×3, first 2 shown]
	v_fmamk_f32 v26, v74, 0x3f737871, v13
	v_fmac_f32_e32 v13, 0xbf737871, v74
	v_fmamk_f32 v25, v78, 0x3f737871, v23
	v_fmac_f32_e32 v23, 0xbf737871, v78
	v_fmac_f32_e32 v104, v81, v30
	v_fma_f32 v81, v82, v30, -v28
	v_fmamk_f32 v28, v108, 0xbf737871, v2
	v_fmac_f32_e32 v2, 0x3f737871, v108
	v_add_f32_e32 v69, v29, v69
	v_fma_f32 v82, v88, v32, -v33
	v_fma_f32 v85, v86, v34, -v35
	v_fmac_f32_e32 v115, v91, v36
	v_fma_f32 v86, v92, v36, -v37
	v_fma_f32 v36, v96, v38, -v39
	;; [unrolled: 1-line block ×6, first 2 shown]
	v_fmac_f32_e32 v27, 0x3f167918, v78
	v_fmac_f32_e32 v14, 0xbf167918, v78
	v_add_f32_e32 v38, v106, v112
	v_add_f32_e32 v66, v117, v118
	;; [unrolled: 1-line block ×3, first 2 shown]
	v_mul_f32_e32 v55, v71, v55
	v_mul_f32_e32 v64, v101, v64
	v_fmamk_f32 v24, v73, 0xbf737871, v22
	v_fmac_f32_e32 v22, 0x3f737871, v73
	v_fmamk_f32 v30, v110, 0x3f737871, v11
	v_fmac_f32_e32 v11, 0xbf737871, v110
	v_fmac_f32_e32 v120, v97, v52
	v_fma_f32 v89, v98, v52, -v53
	v_fmac_f32_e32 v121, v71, v54
	v_fmac_f32_e32 v123, v101, v63
	;; [unrolled: 1-line block ×7, first 2 shown]
	v_add_f32_e32 v35, v69, v70
	v_add_f32_e32 v37, v4, v104
	;; [unrolled: 1-line block ×3, first 2 shown]
	v_sub_f32_e32 v47, v81, v82
	v_sub_f32_e32 v52, v86, v85
	v_add_f32_e32 v65, v6, v116
	v_sub_f32_e32 v69, v36, v88
	v_sub_f32_e32 v70, v39, v87
	v_add_f32_e32 v91, v7, v36
	v_sub_f32_e32 v95, v36, v39
	v_add_f32_e32 v97, v36, v88
	v_sub_f32_e32 v98, v39, v36
	v_fma_f32 v36, -0.5, v38, v4
	v_fma_f32 v38, -0.5, v66, v6
	;; [unrolled: 1-line block ×3, first 2 shown]
	v_fmac_f32_e32 v12, -0.5, v125
	v_fma_f32 v71, v72, v54, -v55
	v_fma_f32 v72, v102, v63, -v64
	v_fmac_f32_e32 v24, 0xbf167918, v74
	v_fmac_f32_e32 v22, 0x3f167918, v74
	;; [unrolled: 1-line block ×6, first 2 shown]
	v_sub_f32_e32 v55, v81, v86
	v_sub_f32_e32 v40, v104, v106
	;; [unrolled: 1-line block ×3, first 2 shown]
	v_add_f32_e32 v45, v5, v81
	v_add_f32_e32 v53, v81, v86
	v_sub_f32_e32 v54, v82, v81
	v_sub_f32_e32 v73, v116, v117
	;; [unrolled: 1-line block ×5, first 2 shown]
	v_add_f32_e32 v101, v121, v123
	v_add_f32_e32 v108, v120, v124
	v_fmac_f32_e32 v26, 0x3e9e377a, v75
	v_fmac_f32_e32 v13, 0x3e9e377a, v75
	;; [unrolled: 1-line block ×4, first 2 shown]
	v_add_f32_e32 v75, v37, v106
	v_fma_f32 v37, -0.5, v46, v5
	v_add_f32_e32 v80, v47, v52
	v_add_f32_e32 v46, v65, v117
	v_fmamk_f32 v52, v70, 0x3f737871, v6
	v_fmac_f32_e32 v6, 0xbf737871, v70
	v_sub_f32_e32 v111, v111, v114
	v_fmamk_f32 v31, v122, 0xbf737871, v12
	v_fmac_f32_e32 v12, 0x3f737871, v122
	v_add_f32_e32 v33, v67, v68
	v_add_f32_e32 v42, v104, v115
	v_sub_f32_e32 v43, v106, v104
	v_sub_f32_e32 v44, v112, v115
	;; [unrolled: 1-line block ×5, first 2 shown]
	v_add_f32_e32 v100, v0, v120
	v_sub_f32_e32 v104, v71, v72
	v_fmac_f32_e32 v25, 0x3e9e377a, v76
	v_fmac_f32_e32 v23, 0x3e9e377a, v76
	v_add_f32_e32 v76, v40, v41
	v_fma_f32 v5, -0.5, v53, v5
	v_add_f32_e32 v73, v73, v74
	v_add_f32_e32 v74, v79, v81
	v_fma_f32 v40, -0.5, v101, v0
	v_fma_f32 v0, -0.5, v108, v0
	v_add_f32_e32 v65, v75, v112
	v_add_f32_e32 v75, v46, v118
	v_fmamk_f32 v46, v69, 0xbf737871, v38
	v_fmac_f32_e32 v38, 0x3f737871, v69
	v_fmac_f32_e32 v52, 0xbf167918, v69
	v_fmac_f32_e32 v6, 0x3f167918, v69
	v_fmamk_f32 v29, v111, 0x3f737871, v3
	v_fmac_f32_e32 v3, 0xbf737871, v111
	v_add_f32_e32 v32, v105, v109
	v_fmac_f32_e32 v31, 0x3f167918, v111
	v_fmac_f32_e32 v12, 0xbf167918, v111
	v_sub_f32_e32 v64, v82, v85
	v_sub_f32_e32 v102, v89, v90
	;; [unrolled: 1-line block ×4, first 2 shown]
	v_add_f32_e32 v111, v1, v89
	v_add_f32_e32 v113, v71, v72
	v_fmac_f32_e32 v27, 0x3e9e377a, v77
	v_fmac_f32_e32 v14, 0x3e9e377a, v77
	v_fma_f32 v4, -0.5, v42, v4
	v_add_f32_e32 v77, v43, v44
	v_add_f32_e32 v43, v45, v82
	v_add_f32_e32 v82, v54, v63
	v_fmamk_f32 v42, v55, 0xbf737871, v36
	v_fmac_f32_e32 v36, 0x3f737871, v55
	v_fmamk_f32 v45, v68, 0xbf737871, v5
	v_fmac_f32_e32 v5, 0x3f737871, v68
	;; [unrolled: 2-line block ×3, first 2 shown]
	v_fmac_f32_e32 v46, 0xbf167918, v70
	v_fmac_f32_e32 v38, 0x3f167918, v70
	;; [unrolled: 1-line block ×4, first 2 shown]
	v_add_f32_e32 v74, v89, v90
	v_fma_f32 v41, -0.5, v113, v1
	v_fmamk_f32 v44, v64, 0x3f737871, v4
	v_fmac_f32_e32 v4, 0xbf737871, v64
	v_add_f32_e32 v66, v43, v85
	v_fmamk_f32 v43, v67, 0x3f737871, v37
	v_fmac_f32_e32 v37, 0xbf737871, v67
	v_fmac_f32_e32 v42, 0xbf167918, v64
	;; [unrolled: 1-line block ×5, first 2 shown]
	v_add_f32_e32 v67, v75, v119
	v_fmac_f32_e32 v46, 0x3e9e377a, v73
	v_fmac_f32_e32 v38, 0x3e9e377a, v73
	;; [unrolled: 1-line block ×3, first 2 shown]
	v_add_f32_e32 v64, v109, v110
	v_fmac_f32_e32 v0, 0x3f167918, v102
	v_add_f32_e32 v73, v111, v71
	v_sub_f32_e32 v75, v121, v123
	v_fmac_f32_e32 v1, -0.5, v74
	v_add_f32_e32 v92, v39, v87
	v_fmac_f32_e32 v42, 0x3e9e377a, v76
	v_fmac_f32_e32 v36, 0x3e9e377a, v76
	v_sub_f32_e32 v70, v120, v124
	v_fmac_f32_e32 v63, 0x3e9e377a, v64
	v_fmac_f32_e32 v0, 0x3e9e377a, v64
	v_add_f32_e32 v73, v73, v72
	v_sub_f32_e32 v74, v89, v71
	v_sub_f32_e32 v76, v90, v72
	v_fmamk_f32 v64, v75, 0xbf737871, v1
	v_sub_f32_e32 v71, v71, v89
	v_sub_f32_e32 v72, v72, v90
	v_fmac_f32_e32 v1, 0x3f737871, v75
	v_sub_f32_e32 v93, v116, v119
	v_add_f32_e32 v47, v91, v39
	v_fma_f32 v39, -0.5, v92, v7
	v_fmac_f32_e32 v64, 0x3f167918, v70
	v_add_f32_e32 v71, v71, v72
	v_fmac_f32_e32 v1, 0xbf167918, v70
	v_sub_f32_e32 v94, v117, v118
	v_fmac_f32_e32 v7, -0.5, v97
	v_add_f32_e32 v103, v126, v127
	v_fmac_f32_e32 v29, 0x3f167918, v122
	v_sub_f32_e32 v96, v88, v87
	v_fmac_f32_e32 v24, 0x3e9e377a, v128
	v_fmac_f32_e32 v30, 0x3e9e377a, v83
	;; [unrolled: 1-line block ×3, first 2 shown]
	v_add_f32_e32 v83, v47, v87
	v_fmamk_f32 v47, v93, 0x3f737871, v39
	v_fmac_f32_e32 v64, 0x3e9e377a, v71
	v_fmac_f32_e32 v1, 0x3e9e377a, v71
	v_mov_b32_e32 v71, 3
	v_add_f32_e32 v34, v107, v114
	v_fmac_f32_e32 v3, 0xbf167918, v122
	v_sub_f32_e32 v99, v87, v88
	v_fmac_f32_e32 v22, 0x3e9e377a, v128
	v_add_f32_e32 v54, v100, v121
	v_fmamk_f32 v53, v94, 0xbf737871, v7
	v_fmac_f32_e32 v7, 0x3f737871, v94
	v_fmac_f32_e32 v29, 0x3e9e377a, v84
	;; [unrolled: 1-line block ×3, first 2 shown]
	v_add_f32_e32 v78, v95, v96
	v_fmac_f32_e32 v39, 0xbf737871, v93
	v_fmac_f32_e32 v43, 0x3f167918, v68
	;; [unrolled: 1-line block ×3, first 2 shown]
	ds_write2_b64 v57, v[32:33], v[24:25] offset1:13
	v_lshlrev_b32_sdwa v21, v71, v21 dst_sel:DWORD dst_unused:UNUSED_PAD src0_sel:DWORD src1_sel:BYTE_0
	ds_write2_b64 v57, v[26:27], v[13:14] offset0:26 offset1:39
	ds_write2_b64 v57, v[22:23], v[34:35] offset0:52 offset1:65
	v_lshlrev_b32_sdwa v14, v71, v19 dst_sel:DWORD dst_unused:UNUSED_PAD src0_sel:DWORD src1_sel:BYTE_0
	v_sub_f32_e32 v105, v120, v121
	v_sub_f32_e32 v107, v124, v123
	v_fmac_f32_e32 v3, 0x3e9e377a, v84
	v_fmac_f32_e32 v12, 0x3e9e377a, v103
	v_add_f32_e32 v79, v98, v99
	v_add_f32_e32 v84, v54, v123
	v_fmamk_f32 v54, v102, 0xbf737871, v40
	v_fmac_f32_e32 v44, 0xbf167918, v55
	v_fmac_f32_e32 v4, 0x3f167918, v55
	;; [unrolled: 1-line block ×4, first 2 shown]
	v_fmamk_f32 v55, v70, 0x3f737871, v41
	v_lshlrev_b32_sdwa v13, v71, v20 dst_sel:DWORD dst_unused:UNUSED_PAD src0_sel:DWORD src1_sel:BYTE_0
	v_fmac_f32_e32 v37, 0xbf167918, v68
	v_fmac_f32_e32 v40, 0x3f737871, v102
	;; [unrolled: 1-line block ×3, first 2 shown]
	v_add_f32_e32 v65, v65, v115
	v_add_f32_e32 v66, v66, v86
	;; [unrolled: 1-line block ×3, first 2 shown]
	v_fmac_f32_e32 v39, 0xbf167918, v94
	v_fmac_f32_e32 v43, 0x3e9e377a, v80
	;; [unrolled: 1-line block ×3, first 2 shown]
	v_add3_u32 v19, 0, v21, v61
	ds_write2_b64 v57, v[28:29], v[30:31] offset0:78 offset1:91
	ds_write2_b64 v57, v[11:12], v[2:3] offset0:104 offset1:117
	v_add3_u32 v3, 0, v14, v61
	v_add_f32_e32 v81, v105, v107
	v_fmac_f32_e32 v54, 0xbf167918, v104
	v_fmac_f32_e32 v44, 0x3e9e377a, v77
	;; [unrolled: 1-line block ×8, first 2 shown]
	v_add_f32_e32 v74, v74, v76
	v_add3_u32 v2, 0, v13, v61
	v_fmac_f32_e32 v37, 0x3e9e377a, v80
	v_fmac_f32_e32 v40, 0x3f167918, v104
	;; [unrolled: 1-line block ×4, first 2 shown]
	ds_write2_b64 v19, v[65:66], v[42:43] offset0:130 offset1:143
	ds_write2_b64 v19, v[44:45], v[4:5] offset0:156 offset1:169
	ds_write_b64 v19, v[36:37] offset:1456
	ds_write2_b64 v3, v[67:68], v[46:47] offset0:195 offset1:208
	ds_write2_b64 v3, v[52:53], v[6:7] offset0:221 offset1:234
	v_lshlrev_b32_e32 v7, 2, v60
	v_add_f32_e32 v69, v84, v124
	v_fmac_f32_e32 v54, 0x3e9e377a, v81
	v_add_f32_e32 v70, v73, v90
	v_fmac_f32_e32 v55, 0x3e9e377a, v74
	v_add_nc_u32_e32 v4, 0x800, v2
	v_fmac_f32_e32 v40, 0x3e9e377a, v81
	v_fmac_f32_e32 v41, 0x3e9e377a, v74
	ds_write_b64 v3, v[38:39] offset:1976
	ds_write2_b64 v4, v[69:70], v[54:55] offset0:4 offset1:17
	ds_write2_b64 v4, v[63:64], v[0:1] offset0:30 offset1:43
	ds_write_b64 v2, v[40:41] offset:2496
	v_lshlrev_b64 v[0:1], 3, v[7:8]
	v_lshlrev_b32_e32 v7, 2, v17
	s_waitcnt lgkmcnt(0)
	s_barrier
	buffer_gl0_inv
	global_load_dwordx4 v[19:22], v[9:10], off offset:416
	v_lshlrev_b64 v[2:3], 3, v[7:8]
	v_lshlrev_b32_e32 v7, 2, v18
	v_add_co_u32 v0, s0, s12, v0
	v_add_co_ci_u32_e64 v1, s0, s13, v1, s0
	v_add_co_u32 v2, s0, s12, v2
	v_lshlrev_b64 v[4:5], 3, v[7:8]
	global_load_dwordx4 v[27:30], v[0:1], off offset:416
	v_add_co_ci_u32_e64 v3, s0, s13, v3, s0
	v_lshlrev_b32_e32 v7, 2, v16
	s_clause 0x2
	global_load_dwordx4 v[23:26], v[9:10], off offset:432
	global_load_dwordx4 v[31:34], v[0:1], off offset:432
	global_load_dwordx4 v[35:38], v[2:3], off offset:416
	v_add_co_u32 v0, s0, s12, v4
	v_add_co_ci_u32_e64 v1, s0, s13, v5, s0
	v_lshlrev_b64 v[4:5], 3, v[7:8]
	s_clause 0x1
	global_load_dwordx4 v[39:42], v[2:3], off offset:432
	global_load_dwordx4 v[43:46], v[0:1], off offset:416
	v_add_co_u32 v2, s0, s12, v4
	v_add_co_ci_u32_e64 v3, s0, s13, v5, s0
	s_clause 0x2
	global_load_dwordx4 v[52:55], v[0:1], off offset:432
	global_load_dwordx4 v[63:66], v[2:3], off offset:416
	;; [unrolled: 1-line block ×3, first 2 shown]
	ds_read2_b64 v[0:3], v57 offset0:52 offset1:65
	ds_read2_b64 v[71:74], v57 offset0:130 offset1:143
	;; [unrolled: 1-line block ×5, first 2 shown]
	ds_read_b64 v[10:11], v62
	ds_read2_b64 v[87:90], v57 offset0:208 offset1:221
	ds_read2_b64 v[4:7], v57 offset0:26 offset1:39
	;; [unrolled: 1-line block ×6, first 2 shown]
	ds_read_b64 v[8:9], v15
	ds_read_b64 v[60:61], v57 offset:2496
	s_waitcnt vmcnt(0) lgkmcnt(0)
	s_barrier
	buffer_gl0_inv
	v_mul_f32_e32 v47, v20, v3
	v_mul_f32_e32 v17, v20, v2
	;; [unrolled: 1-line block ×4, first 2 shown]
	v_fmac_f32_e32 v47, v19, v2
	v_fma_f32 v19, v19, v3, -v17
	v_fmac_f32_e32 v20, v21, v71
	v_fma_f32 v21, v21, v72, -v18
	v_mul_f32_e32 v108, v74, v30
	v_mul_f32_e32 v30, v73, v30
	;; [unrolled: 1-line block ×27, first 2 shown]
	v_fmac_f32_e32 v62, v23, v77
	v_fma_f32 v71, v23, v78, -v22
	v_fmac_f32_e32 v107, v79, v25
	v_fma_f32 v72, v80, v25, -v24
	;; [unrolled: 2-line block ×6, first 2 shown]
	v_mul_f32_e32 v40, v89, v40
	v_mul_f32_e32 v116, v94, v46
	;; [unrolled: 1-line block ×9, first 2 shown]
	v_fmac_f32_e32 v111, v85, v35
	v_fma_f32 v24, v86, v35, -v36
	v_fmac_f32_e32 v112, v91, v37
	v_fma_f32 v25, v92, v37, -v38
	;; [unrolled: 2-line block ×3, first 2 shown]
	v_fma_f32 v77, v100, v43, -v44
	v_fmac_f32_e32 v117, v103, v52
	v_fma_f32 v79, v104, v52, -v53
	v_fmac_f32_e32 v12, v75, v65
	v_fma_f32 v17, v76, v65, -v66
	v_fma_f32 v2, v61, v69, -v70
	v_add_f32_e32 v27, v10, v47
	v_add_f32_e32 v28, v20, v62
	v_sub_f32_e32 v29, v47, v20
	v_add_f32_e32 v31, v47, v107
	v_sub_f32_e32 v33, v20, v47
	v_sub_f32_e32 v34, v62, v107
	v_add_f32_e32 v35, v11, v19
	v_add_f32_e32 v37, v21, v71
	v_sub_f32_e32 v42, v47, v107
	v_add_f32_e32 v44, v19, v72
	v_add_f32_e32 v47, v8, v26
	;; [unrolled: 1-line block ×7, first 2 shown]
	v_fma_f32 v36, v90, v39, -v40
	v_fmac_f32_e32 v114, v95, v41
	v_fmac_f32_e32 v115, v99, v43
	;; [unrolled: 1-line block ×3, first 2 shown]
	v_fma_f32 v78, v94, v45, -v46
	v_fmac_f32_e32 v118, v97, v54
	v_fma_f32 v80, v98, v54, -v55
	v_fmac_f32_e32 v14, v101, v63
	;; [unrolled: 2-line block ×3, first 2 shown]
	v_fma_f32 v18, v106, v67, -v68
	v_sub_f32_e32 v40, v19, v72
	v_sub_f32_e32 v41, v21, v71
	;; [unrolled: 1-line block ×15, first 2 shown]
	v_add_f32_e32 v81, v4, v111
	v_add_f32_e32 v82, v112, v113
	;; [unrolled: 1-line block ×3, first 2 shown]
	v_fma_f32 v19, -0.5, v28, v10
	v_fma_f32 v10, -0.5, v31, v10
	v_add_f32_e32 v103, v33, v34
	v_add_f32_e32 v28, v35, v21
	v_fma_f32 v20, -0.5, v37, v11
	v_fmac_f32_e32 v11, -0.5, v44
	v_add_f32_e32 v31, v47, v108
	v_fma_f32 v21, -0.5, v52, v8
	v_fma_f32 v8, -0.5, v61, v8
	v_add_f32_e32 v34, v65, v23
	v_fma_f32 v22, -0.5, v66, v9
	v_fmac_f32_e32 v9, -0.5, v70
	v_fmac_f32_e32 v16, v60, v69
	v_sub_f32_e32 v46, v71, v72
	v_sub_f32_e32 v60, v110, v109
	;; [unrolled: 1-line block ×6, first 2 shown]
	v_add_f32_e32 v87, v111, v114
	v_add_f32_e32 v90, v5, v24
	;; [unrolled: 1-line block ×8, first 2 shown]
	v_fma_f32 v23, -0.5, v82, v4
	v_add_f32_e32 v39, v27, v62
	v_fmamk_f32 v30, v43, 0xbf737871, v11
	v_fmac_f32_e32 v11, 0x3f737871, v43
	v_add_f32_e32 v62, v31, v109
	v_fmamk_f32 v31, v53, 0xbf737871, v21
	v_fmac_f32_e32 v21, 0x3f737871, v53
	v_fmamk_f32 v33, v54, 0x3f737871, v8
	v_fmac_f32_e32 v8, 0xbf737871, v54
	v_add_f32_e32 v65, v34, v32
	v_fmamk_f32 v32, v26, 0x3f737871, v22
	v_fmac_f32_e32 v22, 0xbf737871, v26
	v_fmamk_f32 v34, v67, 0xbf737871, v9
	v_fmac_f32_e32 v9, 0x3f737871, v67
	v_sub_f32_e32 v84, v25, v36
	v_sub_f32_e32 v85, v111, v112
	;; [unrolled: 1-line block ×5, first 2 shown]
	v_add_f32_e32 v96, v24, v74
	v_sub_f32_e32 v97, v25, v24
	v_sub_f32_e32 v101, v77, v80
	v_add_f32_e32 v45, v45, v46
	v_add_f32_e32 v46, v55, v60
	v_add_f32_e32 v47, v63, v64
	v_add_f32_e32 v52, v68, v69
	v_add_f32_e32 v55, v75, v76
	v_fma_f32 v4, -0.5, v87, v4
	v_add_f32_e32 v38, v90, v25
	v_fma_f32 v24, -0.5, v91, v5
	v_fma_f32 v25, -0.5, v100, v6
	v_add_f32_e32 v66, v35, v113
	v_fmamk_f32 v35, v83, 0xbf737871, v23
	v_fmac_f32_e32 v23, 0x3f737871, v83
	v_fmac_f32_e32 v30, 0x3f167918, v42
	;; [unrolled: 1-line block ×11, first 2 shown]
	v_add_f32_e32 v26, v99, v116
	v_add_f32_e32 v53, v115, v118
	v_sub_f32_e32 v88, v112, v111
	v_sub_f32_e32 v89, v113, v114
	v_sub_f32_e32 v93, v112, v113
	v_sub_f32_e32 v95, v74, v36
	v_sub_f32_e32 v98, v36, v74
	v_add_f32_e32 v60, v85, v86
	v_fma_f32 v5, -0.5, v96, v5
	v_fmamk_f32 v37, v84, 0x3f737871, v4
	v_fmac_f32_e32 v4, 0xbf737871, v84
	v_add_f32_e32 v68, v38, v36
	v_fmamk_f32 v36, v92, 0x3f737871, v24
	v_fmac_f32_e32 v24, 0xbf737871, v92
	v_fmac_f32_e32 v35, 0xbf167918, v84
	;; [unrolled: 1-line block ×13, first 2 shown]
	v_fmamk_f32 v45, v101, 0xbf737871, v25
	v_sub_f32_e32 v46, v78, v79
	v_sub_f32_e32 v47, v115, v116
	;; [unrolled: 1-line block ×3, first 2 shown]
	v_add_f32_e32 v26, v26, v117
	v_fma_f32 v6, -0.5, v53, v6
	v_fmac_f32_e32 v25, 0x3f737871, v101
	v_add_f32_e32 v55, v7, v77
	v_add_f32_e32 v61, v88, v89
	;; [unrolled: 1-line block ×3, first 2 shown]
	v_fmamk_f32 v27, v40, 0xbf737871, v19
	v_fmac_f32_e32 v19, 0x3f737871, v40
	v_fmamk_f32 v38, v93, 0xbf737871, v5
	v_fmac_f32_e32 v37, 0xbf167918, v83
	v_fmac_f32_e32 v4, 0x3f167918, v83
	;; [unrolled: 1-line block ×8, first 2 shown]
	v_add_f32_e32 v47, v47, v52
	v_add_f32_e32 v52, v26, v118
	v_fmamk_f32 v54, v46, 0x3f737871, v6
	v_sub_f32_e32 v26, v116, v115
	v_sub_f32_e32 v53, v117, v118
	v_fmac_f32_e32 v25, 0x3f167918, v46
	v_add_f32_e32 v60, v78, v79
	v_fmac_f32_e32 v6, 0xbf737871, v46
	v_add_f32_e32 v46, v55, v78
	v_add_f32_e32 v64, v97, v98
	v_fmamk_f32 v29, v41, 0x3f737871, v10
	v_fmac_f32_e32 v10, 0xbf737871, v41
	v_fmac_f32_e32 v27, 0xbf167918, v41
	;; [unrolled: 1-line block ×3, first 2 shown]
	v_add_f32_e32 v41, v62, v110
	v_fmac_f32_e32 v38, 0x3f167918, v92
	v_fmac_f32_e32 v37, 0x3e9e377a, v61
	;; [unrolled: 1-line block ×8, first 2 shown]
	v_add_f32_e32 v53, v26, v53
	v_fma_f32 v26, -0.5, v60, v7
	v_sub_f32_e32 v61, v115, v118
	v_fmac_f32_e32 v25, 0x3e9e377a, v47
	v_fmac_f32_e32 v6, 0x3f167918, v101
	v_add_f32_e32 v47, v46, v79
	v_add_f32_e32 v55, v77, v80
	v_sub_f32_e32 v62, v77, v78
	v_sub_f32_e32 v63, v80, v79
	v_fmac_f32_e32 v38, 0x3e9e377a, v64
	v_fmac_f32_e32 v5, 0x3e9e377a, v64
	;; [unrolled: 1-line block ×3, first 2 shown]
	v_fmamk_f32 v46, v61, 0x3f737871, v26
	v_sub_f32_e32 v60, v116, v117
	v_fmac_f32_e32 v6, 0x3e9e377a, v53
	v_fmac_f32_e32 v7, -0.5, v55
	v_add_f32_e32 v53, v47, v80
	v_add_f32_e32 v47, v62, v63
	v_fmac_f32_e32 v26, 0xbf737871, v61
	v_sub_f32_e32 v62, v78, v77
	v_sub_f32_e32 v63, v79, v80
	v_add_f32_e32 v64, v12, v13
	v_add_f32_e32 v44, v28, v71
	v_fmamk_f32 v28, v42, 0x3f737871, v20
	v_fmac_f32_e32 v20, 0xbf737871, v42
	v_add_f32_e32 v42, v65, v73
	v_fmac_f32_e32 v46, 0x3f167918, v60
	v_fmamk_f32 v55, v60, 0xbf737871, v7
	v_fmac_f32_e32 v26, 0xbf167918, v60
	v_add_f32_e32 v63, v62, v63
	v_fmac_f32_e32 v7, 0x3f737871, v60
	v_add_f32_e32 v62, v0, v14
	v_fma_f32 v60, -0.5, v64, v0
	v_sub_f32_e32 v65, v3, v2
	v_fmac_f32_e32 v28, 0x3f167918, v43
	v_fmac_f32_e32 v20, 0xbf167918, v43
	v_add_f32_e32 v43, v66, v114
	v_fmac_f32_e32 v46, 0x3e9e377a, v47
	v_fmac_f32_e32 v55, 0x3f167918, v61
	v_fmac_f32_e32 v26, 0x3e9e377a, v47
	v_fmac_f32_e32 v7, 0xbf167918, v61
	v_add_f32_e32 v47, v62, v12
	v_fmamk_f32 v62, v65, 0xbf737871, v60
	v_sub_f32_e32 v61, v17, v18
	v_sub_f32_e32 v64, v14, v12
	;; [unrolled: 1-line block ×3, first 2 shown]
	v_fmac_f32_e32 v60, 0x3f737871, v65
	v_add_f32_e32 v67, v14, v16
	v_fmac_f32_e32 v62, 0xbf167918, v61
	v_add_f32_e32 v47, v47, v13
	v_add_f32_e32 v66, v64, v66
	v_fmac_f32_e32 v60, 0x3f167918, v61
	v_fma_f32 v0, -0.5, v67, v0
	v_fmac_f32_e32 v29, 0xbf167918, v40
	v_fmac_f32_e32 v10, 0x3f167918, v40
	;; [unrolled: 1-line block ×4, first 2 shown]
	v_fmamk_f32 v66, v61, 0x3f737871, v0
	v_fmac_f32_e32 v0, 0xbf737871, v61
	v_add_f32_e32 v40, v44, v72
	v_add_f32_e32 v44, v68, v74
	v_fmac_f32_e32 v55, 0x3e9e377a, v63
	v_fmac_f32_e32 v7, 0x3e9e377a, v63
	v_add_f32_e32 v64, v47, v16
	v_add_f32_e32 v47, v17, v18
	v_sub_f32_e32 v63, v12, v14
	v_sub_f32_e32 v67, v13, v16
	v_add_f32_e32 v68, v1, v3
	v_fmac_f32_e32 v66, 0xbf167918, v65
	v_fmac_f32_e32 v0, 0x3f167918, v65
	v_add_f32_e32 v65, v3, v2
	v_fma_f32 v61, -0.5, v47, v1
	v_sub_f32_e32 v14, v14, v16
	v_add_f32_e32 v16, v63, v67
	v_add_f32_e32 v47, v68, v17
	v_sub_f32_e32 v12, v12, v13
	v_fmac_f32_e32 v1, -0.5, v65
	v_fmamk_f32 v63, v14, 0x3f737871, v61
	v_fmac_f32_e32 v66, 0x3e9e377a, v16
	v_fmac_f32_e32 v0, 0x3e9e377a, v16
	v_add_f32_e32 v13, v47, v18
	v_sub_f32_e32 v16, v3, v17
	v_sub_f32_e32 v47, v2, v18
	v_fmac_f32_e32 v61, 0xbf737871, v14
	v_fmamk_f32 v67, v12, 0xbf737871, v1
	v_sub_f32_e32 v3, v17, v3
	v_sub_f32_e32 v17, v18, v2
	v_fmac_f32_e32 v1, 0x3f737871, v12
	v_add_f32_e32 v39, v39, v107
	v_fmac_f32_e32 v63, 0x3f167918, v12
	v_add_f32_e32 v16, v16, v47
	v_fmac_f32_e32 v61, 0xbf167918, v12
	v_fmac_f32_e32 v67, 0x3f167918, v14
	v_add_f32_e32 v3, v3, v17
	v_fmac_f32_e32 v1, 0xbf167918, v14
	v_fmac_f32_e32 v27, 0x3e9e377a, v102
	;; [unrolled: 1-line block ×7, first 2 shown]
	v_add_f32_e32 v65, v13, v2
	v_fmac_f32_e32 v63, 0x3e9e377a, v16
	v_fmac_f32_e32 v61, 0x3e9e377a, v16
	;; [unrolled: 1-line block ×4, first 2 shown]
	ds_write_b64 v57, v[39:40]
	ds_write_b64 v57, v[27:28] offset:520
	ds_write_b64 v57, v[29:30] offset:1040
	;; [unrolled: 1-line block ×4, first 2 shown]
	ds_write2_b64 v15, v[41:42], v[31:32] offset1:65
	ds_write2_b64 v15, v[33:34], v[8:9] offset0:130 offset1:195
	ds_write_b64 v15, v[21:22] offset:2080
	ds_write2_b64 v57, v[43:44], v[52:53] offset0:26 offset1:39
	ds_write2_b64 v57, v[35:36], v[45:46] offset0:91 offset1:104
	;; [unrolled: 1-line block ×5, first 2 shown]
	ds_write_b64 v57, v[64:65] offset:416
	ds_write_b64 v57, v[62:63] offset:936
	;; [unrolled: 1-line block ×5, first 2 shown]
	s_waitcnt lgkmcnt(0)
	s_barrier
	buffer_gl0_inv
	s_and_saveexec_b32 s0, vcc_lo
	s_cbranch_execz .LBB0_17
; %bb.16:
	v_mul_lo_u32 v2, s5, v50
	v_mul_lo_u32 v3, s4, v51
	v_mad_u64_u32 v[0:1], null, s4, v50, 0
	v_mad_u64_u32 v[4:5], null, s2, v56, 0
	v_add_nc_u32_e32 v12, 13, v56
	v_add_nc_u32_e32 v15, 26, v56
	v_lshl_add_u32 v25, v56, 3, v58
	v_add_nc_u32_e32 v16, 52, v56
	v_add3_u32 v1, v1, v3, v2
	v_mad_u64_u32 v[6:7], null, s2, v12, 0
	v_mov_b32_e32 v2, v5
	v_add_nc_u32_e32 v17, 0x41, v56
	v_lshlrev_b64 v[8:9], 3, v[0:1]
	v_add_nc_u32_e32 v18, 0x4e, v56
	v_add_nc_u32_e32 v19, 0x82, v56
	v_mad_u64_u32 v[10:11], null, s3, v56, v[2:3]
	ds_read2_b64 v[0:3], v25 offset1:13
	v_add_co_u32 v13, vcc_lo, s10, v8
	v_add_co_ci_u32_e32 v14, vcc_lo, s11, v9, vcc_lo
	v_lshlrev_b64 v[8:9], 3, v[48:49]
	v_mov_b32_e32 v5, v10
	v_add_nc_u32_e32 v21, 0x8f, v56
	v_add_nc_u32_e32 v23, 0x9c, v56
	v_mad_u64_u32 v[10:11], null, s3, v12, v[7:8]
	v_add_co_u32 v26, vcc_lo, v13, v8
	v_mad_u64_u32 v[11:12], null, s2, v15, 0
	v_add_co_ci_u32_e32 v27, vcc_lo, v14, v9, vcc_lo
	v_add_nc_u32_e32 v14, 39, v56
	v_mov_b32_e32 v7, v10
	v_lshlrev_b64 v[4:5], 3, v[4:5]
	v_mov_b32_e32 v8, v12
	v_mad_u64_u32 v[9:10], null, s2, v14, 0
	v_lshlrev_b64 v[6:7], 3, v[6:7]
	v_add_co_u32 v4, vcc_lo, v26, v4
	v_add_co_ci_u32_e32 v5, vcc_lo, v27, v5, vcc_lo
	v_mad_u64_u32 v[12:13], null, s3, v15, v[8:9]
	v_mov_b32_e32 v8, v10
	v_add_co_u32 v6, vcc_lo, v26, v6
	v_add_co_ci_u32_e32 v7, vcc_lo, v27, v7, vcc_lo
	v_mad_u64_u32 v[13:14], null, s3, v14, v[8:9]
	v_mad_u64_u32 v[14:15], null, s2, v16, 0
	s_waitcnt lgkmcnt(0)
	global_store_dwordx2 v[4:5], v[0:1], off
	global_store_dwordx2 v[6:7], v[2:3], off
	v_mad_u64_u32 v[7:8], null, s2, v17, 0
	ds_read2_b64 v[0:3], v25 offset0:26 offset1:39
	v_mov_b32_e32 v10, v13
	v_lshlrev_b64 v[4:5], 3, v[11:12]
	v_mov_b32_e32 v6, v15
	v_lshlrev_b64 v[9:10], 3, v[9:10]
	v_mad_u64_u32 v[11:12], null, s3, v16, v[6:7]
	v_mov_b32_e32 v6, v8
	v_add_co_u32 v4, vcc_lo, v26, v4
	v_add_co_ci_u32_e32 v5, vcc_lo, v27, v5, vcc_lo
	v_mad_u64_u32 v[12:13], null, s3, v17, v[6:7]
	v_add_co_u32 v8, vcc_lo, v26, v9
	v_add_co_ci_u32_e32 v9, vcc_lo, v27, v10, vcc_lo
	v_mov_b32_e32 v15, v11
	v_mad_u64_u32 v[16:17], null, s2, v18, 0
	v_add_nc_u32_e32 v13, 0x5b, v56
	s_waitcnt lgkmcnt(0)
	global_store_dwordx2 v[4:5], v[0:1], off
	global_store_dwordx2 v[8:9], v[2:3], off
	v_mov_b32_e32 v8, v12
	ds_read2_b64 v[0:3], v25 offset0:52 offset1:65
	v_lshlrev_b64 v[4:5], 3, v[14:15]
	v_mad_u64_u32 v[9:10], null, s2, v13, 0
	v_lshlrev_b64 v[7:8], 3, v[7:8]
	v_mov_b32_e32 v6, v17
	v_add_nc_u32_e32 v15, 0x68, v56
	v_add_co_u32 v4, vcc_lo, v26, v4
	v_add_co_ci_u32_e32 v5, vcc_lo, v27, v5, vcc_lo
	v_mad_u64_u32 v[11:12], null, s3, v18, v[6:7]
	v_mov_b32_e32 v6, v10
	v_add_co_u32 v7, vcc_lo, v26, v7
	v_add_nc_u32_e32 v18, 0x75, v56
	v_add_co_ci_u32_e32 v8, vcc_lo, v27, v8, vcc_lo
	v_mad_u64_u32 v[12:13], null, s3, v13, v[6:7]
	v_mad_u64_u32 v[13:14], null, s2, v15, 0
	s_waitcnt lgkmcnt(0)
	global_store_dwordx2 v[4:5], v[0:1], off
	global_store_dwordx2 v[7:8], v[2:3], off
	v_mad_u64_u32 v[7:8], null, s2, v18, 0
	v_mov_b32_e32 v17, v11
	ds_read2_b64 v[0:3], v25 offset0:78 offset1:91
	v_mov_b32_e32 v10, v12
	v_mov_b32_e32 v6, v14
	v_lshlrev_b64 v[4:5], 3, v[16:17]
	v_lshlrev_b64 v[9:10], 3, v[9:10]
	v_mad_u64_u32 v[11:12], null, s3, v15, v[6:7]
	v_mad_u64_u32 v[15:16], null, s2, v19, 0
	v_add_co_u32 v4, vcc_lo, v26, v4
	v_add_co_ci_u32_e32 v5, vcc_lo, v27, v5, vcc_lo
	v_mov_b32_e32 v6, v8
	v_add_co_u32 v8, vcc_lo, v26, v9
	v_mov_b32_e32 v14, v11
	v_add_co_ci_u32_e32 v9, vcc_lo, v27, v10, vcc_lo
	v_mad_u64_u32 v[17:18], null, s3, v18, v[6:7]
	s_waitcnt lgkmcnt(0)
	global_store_dwordx2 v[4:5], v[0:1], off
	global_store_dwordx2 v[8:9], v[2:3], off
	v_lshlrev_b64 v[5:6], 3, v[13:14]
	v_mov_b32_e32 v4, v16
	ds_read2_b64 v[0:3], v25 offset0:104 offset1:117
	v_mov_b32_e32 v8, v17
	v_mad_u64_u32 v[9:10], null, s3, v19, v[4:5]
	v_mad_u64_u32 v[10:11], null, s2, v21, 0
	v_add_co_u32 v12, vcc_lo, v26, v5
	v_add_co_ci_u32_e32 v13, vcc_lo, v27, v6, vcc_lo
	v_lshlrev_b64 v[17:18], 3, v[7:8]
	ds_read2_b64 v[4:7], v25 offset0:130 offset1:143
	v_mov_b32_e32 v8, v11
	v_mov_b32_e32 v16, v9
	v_mad_u64_u32 v[19:20], null, s2, v23, 0
	v_add_co_u32 v17, vcc_lo, v26, v17
	v_mad_u64_u32 v[8:9], null, s3, v21, v[8:9]
	v_lshlrev_b64 v[14:15], 3, v[15:16]
	v_add_nc_u32_e32 v16, 0xa9, v56
	v_add_co_ci_u32_e32 v18, vcc_lo, v27, v18, vcc_lo
	v_mov_b32_e32 v9, v20
	v_mad_u64_u32 v[21:22], null, s2, v16, 0
	v_add_co_u32 v14, vcc_lo, v26, v14
	v_mov_b32_e32 v11, v8
	v_add_co_ci_u32_e32 v15, vcc_lo, v27, v15, vcc_lo
	s_waitcnt lgkmcnt(1)
	global_store_dwordx2 v[12:13], v[0:1], off
	global_store_dwordx2 v[17:18], v[2:3], off
	s_waitcnt lgkmcnt(0)
	global_store_dwordx2 v[14:15], v[4:5], off
	v_lshlrev_b64 v[1:2], 3, v[10:11]
	v_mad_u64_u32 v[23:24], null, s3, v23, v[9:10]
	v_mov_b32_e32 v0, v22
	v_add_nc_u32_e32 v18, 0xb6, v56
	v_add_co_u32 v10, vcc_lo, v26, v1
	v_mad_u64_u32 v[4:5], null, s3, v16, v[0:1]
	v_mad_u64_u32 v[8:9], null, s2, v18, 0
	v_mov_b32_e32 v20, v23
	v_add_nc_u32_e32 v23, 0xc3, v56
	v_add_co_ci_u32_e32 v11, vcc_lo, v27, v2, vcc_lo
	v_mov_b32_e32 v22, v4
	ds_read2_b64 v[0:3], v25 offset0:156 offset1:169
	v_mov_b32_e32 v4, v9
	v_mad_u64_u32 v[14:15], null, s2, v23, 0
	v_lshlrev_b64 v[12:13], 3, v[19:20]
	v_lshlrev_b64 v[16:17], 3, v[21:22]
	v_mad_u64_u32 v[4:5], null, s3, v18, v[4:5]
	v_add_nc_u32_e32 v22, 0xd0, v56
	global_store_dwordx2 v[10:11], v[6:7], off
	v_mov_b32_e32 v5, v15
	v_add_co_u32 v12, vcc_lo, v26, v12
	v_mad_u64_u32 v[18:19], null, s2, v22, 0
	v_mad_u64_u32 v[20:21], null, s3, v23, v[5:6]
	v_mov_b32_e32 v9, v4
	v_add_co_ci_u32_e32 v13, vcc_lo, v27, v13, vcc_lo
	v_add_co_u32 v15, vcc_lo, v26, v16
	v_add_co_ci_u32_e32 v16, vcc_lo, v27, v17, vcc_lo
	v_lshlrev_b64 v[5:6], 3, v[8:9]
	v_mov_b32_e32 v4, v19
	s_waitcnt lgkmcnt(0)
	global_store_dwordx2 v[12:13], v[0:1], off
	global_store_dwordx2 v[15:16], v[2:3], off
	v_mov_b32_e32 v15, v20
	v_add_nc_u32_e32 v20, 0xdd, v56
	v_add_nc_u32_e32 v23, 0xf7, v56
	v_mad_u64_u32 v[7:8], null, s3, v22, v[4:5]
	v_lshlrev_b64 v[12:13], 3, v[14:15]
	v_add_nc_u32_e32 v22, 0xea, v56
	v_add_co_u32 v8, vcc_lo, v26, v5
	v_mad_u64_u32 v[10:11], null, s2, v20, 0
	ds_read2_b64 v[0:3], v25 offset0:182 offset1:195
	v_add_co_ci_u32_e32 v9, vcc_lo, v27, v6, vcc_lo
	v_mov_b32_e32 v19, v7
	v_mad_u64_u32 v[14:15], null, s2, v22, 0
	v_mad_u64_u32 v[16:17], null, s2, v23, 0
	v_add_co_u32 v12, vcc_lo, v26, v12
	ds_read2_b64 v[4:7], v25 offset0:208 offset1:221
	v_lshlrev_b64 v[18:19], 3, v[18:19]
	v_add_co_ci_u32_e32 v13, vcc_lo, v27, v13, vcc_lo
	v_mad_u64_u32 v[20:21], null, s3, v20, v[11:12]
	v_mad_u64_u32 v[21:22], null, s3, v22, v[15:16]
	v_mov_b32_e32 v15, v17
	v_add_co_u32 v17, vcc_lo, v26, v18
	v_add_co_ci_u32_e32 v18, vcc_lo, v27, v19, vcc_lo
	v_mov_b32_e32 v11, v20
	v_mad_u64_u32 v[19:20], null, s3, v23, v[15:16]
	s_waitcnt lgkmcnt(1)
	global_store_dwordx2 v[8:9], v[0:1], off
	v_mov_b32_e32 v15, v21
	global_store_dwordx2 v[12:13], v[2:3], off
	ds_read2_b64 v[0:3], v25 offset0:234 offset1:247
	v_lshlrev_b64 v[8:9], 3, v[10:11]
	s_waitcnt lgkmcnt(1)
	global_store_dwordx2 v[17:18], v[4:5], off
	v_mov_b32_e32 v17, v19
	v_lshlrev_b64 v[4:5], 3, v[14:15]
	v_add_nc_u32_e32 v20, 0x138, v56
	v_add_nc_u32_e32 v19, 0x800, v25
	v_add_co_u32 v8, vcc_lo, v26, v8
	v_lshlrev_b64 v[10:11], 3, v[16:17]
	v_add_nc_u32_e32 v16, 0x104, v56
	v_add_nc_u32_e32 v17, 0x111, v56
	v_add_co_ci_u32_e32 v9, vcc_lo, v27, v9, vcc_lo
	v_add_co_u32 v4, vcc_lo, v26, v4
	v_mad_u64_u32 v[12:13], null, s2, v16, 0
	v_mad_u64_u32 v[14:15], null, s2, v17, 0
	v_add_co_ci_u32_e32 v5, vcc_lo, v27, v5, vcc_lo
	v_add_co_u32 v10, vcc_lo, v26, v10
	v_add_co_ci_u32_e32 v11, vcc_lo, v27, v11, vcc_lo
	global_store_dwordx2 v[8:9], v[6:7], off
	v_add_nc_u32_e32 v6, 0x11e, v56
	s_waitcnt lgkmcnt(0)
	global_store_dwordx2 v[4:5], v[0:1], off
	global_store_dwordx2 v[10:11], v[2:3], off
	v_mov_b32_e32 v0, v13
	v_mov_b32_e32 v1, v15
	v_mad_u64_u32 v[8:9], null, s2, v6, 0
	v_mad_u64_u32 v[2:3], null, s3, v16, v[0:1]
	v_add_nc_u32_e32 v16, 0x12b, v56
	v_mov_b32_e32 v0, v9
	v_mad_u64_u32 v[10:11], null, s2, v16, 0
	v_mov_b32_e32 v13, v2
	v_mad_u64_u32 v[4:5], null, s3, v17, v[1:2]
	v_mad_u64_u32 v[5:6], null, s3, v6, v[0:1]
	v_lshlrev_b64 v[6:7], 3, v[12:13]
	v_mad_u64_u32 v[12:13], null, s2, v20, 0
	ds_read2_b64 v[0:3], v19 offset0:4 offset1:17
	v_mov_b32_e32 v15, v4
	v_mov_b32_e32 v4, v11
	;; [unrolled: 1-line block ×4, first 2 shown]
	v_mad_u64_u32 v[16:17], null, s3, v16, v[4:5]
	v_add_co_u32 v17, vcc_lo, v26, v6
	v_add_co_ci_u32_e32 v18, vcc_lo, v27, v7, vcc_lo
	ds_read2_b64 v[4:7], v19 offset0:30 offset1:43
	v_mad_u64_u32 v[19:20], null, s3, v20, v[11:12]
	v_lshlrev_b64 v[13:14], 3, v[14:15]
	v_mov_b32_e32 v11, v16
	ds_read_b64 v[20:21], v25 offset:2496
	v_lshlrev_b64 v[8:9], 3, v[8:9]
	v_add_co_u32 v15, vcc_lo, v26, v13
	v_mov_b32_e32 v13, v19
	v_lshlrev_b64 v[10:11], 3, v[10:11]
	v_add_co_ci_u32_e32 v16, vcc_lo, v27, v14, vcc_lo
	v_add_co_u32 v8, vcc_lo, v26, v8
	v_lshlrev_b64 v[12:13], 3, v[12:13]
	v_add_co_ci_u32_e32 v9, vcc_lo, v27, v9, vcc_lo
	v_add_co_u32 v10, vcc_lo, v26, v10
	v_add_co_ci_u32_e32 v11, vcc_lo, v27, v11, vcc_lo
	v_add_co_u32 v12, vcc_lo, v26, v12
	v_add_co_ci_u32_e32 v13, vcc_lo, v27, v13, vcc_lo
	s_waitcnt lgkmcnt(2)
	global_store_dwordx2 v[17:18], v[0:1], off
	global_store_dwordx2 v[15:16], v[2:3], off
	s_waitcnt lgkmcnt(1)
	global_store_dwordx2 v[8:9], v[4:5], off
	global_store_dwordx2 v[10:11], v[6:7], off
	s_waitcnt lgkmcnt(0)
	global_store_dwordx2 v[12:13], v[20:21], off
.LBB0_17:
	s_endpgm
	.section	.rodata,"a",@progbits
	.p2align	6, 0x0
	.amdhsa_kernel fft_rtc_back_len325_factors_13_5_5_wgs_52_tpt_13_sp_op_CI_CI_sbrr_dirReg
		.amdhsa_group_segment_fixed_size 0
		.amdhsa_private_segment_fixed_size 0
		.amdhsa_kernarg_size 104
		.amdhsa_user_sgpr_count 6
		.amdhsa_user_sgpr_private_segment_buffer 1
		.amdhsa_user_sgpr_dispatch_ptr 0
		.amdhsa_user_sgpr_queue_ptr 0
		.amdhsa_user_sgpr_kernarg_segment_ptr 1
		.amdhsa_user_sgpr_dispatch_id 0
		.amdhsa_user_sgpr_flat_scratch_init 0
		.amdhsa_user_sgpr_private_segment_size 0
		.amdhsa_wavefront_size32 1
		.amdhsa_uses_dynamic_stack 0
		.amdhsa_system_sgpr_private_segment_wavefront_offset 0
		.amdhsa_system_sgpr_workgroup_id_x 1
		.amdhsa_system_sgpr_workgroup_id_y 0
		.amdhsa_system_sgpr_workgroup_id_z 0
		.amdhsa_system_sgpr_workgroup_info 0
		.amdhsa_system_vgpr_workitem_id 0
		.amdhsa_next_free_vgpr 131
		.amdhsa_next_free_sgpr 31
		.amdhsa_reserve_vcc 1
		.amdhsa_reserve_flat_scratch 0
		.amdhsa_float_round_mode_32 0
		.amdhsa_float_round_mode_16_64 0
		.amdhsa_float_denorm_mode_32 3
		.amdhsa_float_denorm_mode_16_64 3
		.amdhsa_dx10_clamp 1
		.amdhsa_ieee_mode 1
		.amdhsa_fp16_overflow 0
		.amdhsa_workgroup_processor_mode 1
		.amdhsa_memory_ordered 1
		.amdhsa_forward_progress 0
		.amdhsa_shared_vgpr_count 0
		.amdhsa_exception_fp_ieee_invalid_op 0
		.amdhsa_exception_fp_denorm_src 0
		.amdhsa_exception_fp_ieee_div_zero 0
		.amdhsa_exception_fp_ieee_overflow 0
		.amdhsa_exception_fp_ieee_underflow 0
		.amdhsa_exception_fp_ieee_inexact 0
		.amdhsa_exception_int_div_zero 0
	.end_amdhsa_kernel
	.text
.Lfunc_end0:
	.size	fft_rtc_back_len325_factors_13_5_5_wgs_52_tpt_13_sp_op_CI_CI_sbrr_dirReg, .Lfunc_end0-fft_rtc_back_len325_factors_13_5_5_wgs_52_tpt_13_sp_op_CI_CI_sbrr_dirReg
                                        ; -- End function
	.section	.AMDGPU.csdata,"",@progbits
; Kernel info:
; codeLenInByte = 15668
; NumSgprs: 33
; NumVgprs: 131
; ScratchSize: 0
; MemoryBound: 0
; FloatMode: 240
; IeeeMode: 1
; LDSByteSize: 0 bytes/workgroup (compile time only)
; SGPRBlocks: 4
; VGPRBlocks: 16
; NumSGPRsForWavesPerEU: 33
; NumVGPRsForWavesPerEU: 131
; Occupancy: 7
; WaveLimiterHint : 1
; COMPUTE_PGM_RSRC2:SCRATCH_EN: 0
; COMPUTE_PGM_RSRC2:USER_SGPR: 6
; COMPUTE_PGM_RSRC2:TRAP_HANDLER: 0
; COMPUTE_PGM_RSRC2:TGID_X_EN: 1
; COMPUTE_PGM_RSRC2:TGID_Y_EN: 0
; COMPUTE_PGM_RSRC2:TGID_Z_EN: 0
; COMPUTE_PGM_RSRC2:TIDIG_COMP_CNT: 0
	.text
	.p2alignl 6, 3214868480
	.fill 48, 4, 3214868480
	.type	__hip_cuid_e4ebb41ee59fa59c,@object ; @__hip_cuid_e4ebb41ee59fa59c
	.section	.bss,"aw",@nobits
	.globl	__hip_cuid_e4ebb41ee59fa59c
__hip_cuid_e4ebb41ee59fa59c:
	.byte	0                               ; 0x0
	.size	__hip_cuid_e4ebb41ee59fa59c, 1

	.ident	"AMD clang version 19.0.0git (https://github.com/RadeonOpenCompute/llvm-project roc-6.4.0 25133 c7fe45cf4b819c5991fe208aaa96edf142730f1d)"
	.section	".note.GNU-stack","",@progbits
	.addrsig
	.addrsig_sym __hip_cuid_e4ebb41ee59fa59c
	.amdgpu_metadata
---
amdhsa.kernels:
  - .args:
      - .actual_access:  read_only
        .address_space:  global
        .offset:         0
        .size:           8
        .value_kind:     global_buffer
      - .offset:         8
        .size:           8
        .value_kind:     by_value
      - .actual_access:  read_only
        .address_space:  global
        .offset:         16
        .size:           8
        .value_kind:     global_buffer
      - .actual_access:  read_only
        .address_space:  global
        .offset:         24
        .size:           8
        .value_kind:     global_buffer
      - .actual_access:  read_only
        .address_space:  global
        .offset:         32
        .size:           8
        .value_kind:     global_buffer
      - .offset:         40
        .size:           8
        .value_kind:     by_value
      - .actual_access:  read_only
        .address_space:  global
        .offset:         48
        .size:           8
        .value_kind:     global_buffer
      - .actual_access:  read_only
        .address_space:  global
        .offset:         56
        .size:           8
        .value_kind:     global_buffer
      - .offset:         64
        .size:           4
        .value_kind:     by_value
      - .actual_access:  read_only
        .address_space:  global
        .offset:         72
        .size:           8
        .value_kind:     global_buffer
      - .actual_access:  read_only
        .address_space:  global
        .offset:         80
        .size:           8
        .value_kind:     global_buffer
      - .actual_access:  read_only
        .address_space:  global
        .offset:         88
        .size:           8
        .value_kind:     global_buffer
      - .actual_access:  write_only
        .address_space:  global
        .offset:         96
        .size:           8
        .value_kind:     global_buffer
    .group_segment_fixed_size: 0
    .kernarg_segment_align: 8
    .kernarg_segment_size: 104
    .language:       OpenCL C
    .language_version:
      - 2
      - 0
    .max_flat_workgroup_size: 52
    .name:           fft_rtc_back_len325_factors_13_5_5_wgs_52_tpt_13_sp_op_CI_CI_sbrr_dirReg
    .private_segment_fixed_size: 0
    .sgpr_count:     33
    .sgpr_spill_count: 0
    .symbol:         fft_rtc_back_len325_factors_13_5_5_wgs_52_tpt_13_sp_op_CI_CI_sbrr_dirReg.kd
    .uniform_work_group_size: 1
    .uses_dynamic_stack: false
    .vgpr_count:     131
    .vgpr_spill_count: 0
    .wavefront_size: 32
    .workgroup_processor_mode: 1
amdhsa.target:   amdgcn-amd-amdhsa--gfx1030
amdhsa.version:
  - 1
  - 2
...

	.end_amdgpu_metadata
